;; amdgpu-corpus repo=ROCm/rocFFT kind=compiled arch=gfx1030 opt=O3
	.text
	.amdgcn_target "amdgcn-amd-amdhsa--gfx1030"
	.amdhsa_code_object_version 6
	.protected	fft_rtc_back_len845_factors_13_5_13_wgs_195_tpt_65_halfLds_dp_op_CI_CI_unitstride_sbrr_dirReg ; -- Begin function fft_rtc_back_len845_factors_13_5_13_wgs_195_tpt_65_halfLds_dp_op_CI_CI_unitstride_sbrr_dirReg
	.globl	fft_rtc_back_len845_factors_13_5_13_wgs_195_tpt_65_halfLds_dp_op_CI_CI_unitstride_sbrr_dirReg
	.p2align	8
	.type	fft_rtc_back_len845_factors_13_5_13_wgs_195_tpt_65_halfLds_dp_op_CI_CI_unitstride_sbrr_dirReg,@function
fft_rtc_back_len845_factors_13_5_13_wgs_195_tpt_65_halfLds_dp_op_CI_CI_unitstride_sbrr_dirReg: ; @fft_rtc_back_len845_factors_13_5_13_wgs_195_tpt_65_halfLds_dp_op_CI_CI_unitstride_sbrr_dirReg
; %bb.0:
	s_load_dwordx4 s[12:15], s[4:5], 0x0
	v_mul_u32_u24_e32 v1, 0x3f1, v0
	s_clause 0x1
	s_load_dwordx4 s[8:11], s[4:5], 0x58
	s_load_dwordx4 s[16:19], s[4:5], 0x18
	v_mov_b32_e32 v4, 0
	v_mov_b32_e32 v5, 0
	v_lshrrev_b32_e32 v2, 16, v1
	v_mov_b32_e32 v1, 0
	v_mov_b32_e32 v77, v5
	;; [unrolled: 1-line block ×3, first 2 shown]
	v_mad_u64_u32 v[44:45], null, s6, 3, v[2:3]
	v_mov_b32_e32 v45, v1
	v_mov_b32_e32 v79, v45
	;; [unrolled: 1-line block ×3, first 2 shown]
	s_waitcnt lgkmcnt(0)
	v_cmp_lt_u64_e64 s0, s[14:15], 2
	s_and_b32 vcc_lo, exec_lo, s0
	s_cbranch_vccnz .LBB0_8
; %bb.1:
	s_load_dwordx2 s[0:1], s[4:5], 0x10
	v_mov_b32_e32 v4, 0
	v_mov_b32_e32 v5, 0
	s_add_u32 s2, s18, 8
	v_mov_b32_e32 v6, v44
	s_addc_u32 s3, s19, 0
	v_mov_b32_e32 v7, v45
	v_mov_b32_e32 v77, v5
	s_add_u32 s6, s16, 8
	v_mov_b32_e32 v76, v4
	s_addc_u32 s7, s17, 0
	s_mov_b64 s[22:23], 1
	s_waitcnt lgkmcnt(0)
	s_add_u32 s20, s0, 8
	s_addc_u32 s21, s1, 0
.LBB0_2:                                ; =>This Inner Loop Header: Depth=1
	s_load_dwordx2 s[24:25], s[20:21], 0x0
                                        ; implicit-def: $vgpr78_vgpr79
	s_mov_b32 s0, exec_lo
	s_waitcnt lgkmcnt(0)
	v_or_b32_e32 v2, s25, v7
	v_cmpx_ne_u64_e32 0, v[1:2]
	s_xor_b32 s1, exec_lo, s0
	s_cbranch_execz .LBB0_4
; %bb.3:                                ;   in Loop: Header=BB0_2 Depth=1
	v_cvt_f32_u32_e32 v2, s24
	v_cvt_f32_u32_e32 v3, s25
	s_sub_u32 s0, 0, s24
	s_subb_u32 s26, 0, s25
	v_fmac_f32_e32 v2, 0x4f800000, v3
	v_rcp_f32_e32 v2, v2
	v_mul_f32_e32 v2, 0x5f7ffffc, v2
	v_mul_f32_e32 v3, 0x2f800000, v2
	v_trunc_f32_e32 v3, v3
	v_fmac_f32_e32 v2, 0xcf800000, v3
	v_cvt_u32_f32_e32 v3, v3
	v_cvt_u32_f32_e32 v2, v2
	v_mul_lo_u32 v8, s0, v3
	v_mul_hi_u32 v9, s0, v2
	v_mul_lo_u32 v10, s26, v2
	v_add_nc_u32_e32 v8, v9, v8
	v_mul_lo_u32 v9, s0, v2
	v_add_nc_u32_e32 v8, v8, v10
	v_mul_hi_u32 v10, v2, v9
	v_mul_lo_u32 v11, v2, v8
	v_mul_hi_u32 v12, v2, v8
	v_mul_hi_u32 v13, v3, v9
	v_mul_lo_u32 v9, v3, v9
	v_mul_hi_u32 v14, v3, v8
	v_mul_lo_u32 v8, v3, v8
	v_add_co_u32 v10, vcc_lo, v10, v11
	v_add_co_ci_u32_e32 v11, vcc_lo, 0, v12, vcc_lo
	v_add_co_u32 v9, vcc_lo, v10, v9
	v_add_co_ci_u32_e32 v9, vcc_lo, v11, v13, vcc_lo
	v_add_co_ci_u32_e32 v10, vcc_lo, 0, v14, vcc_lo
	v_add_co_u32 v8, vcc_lo, v9, v8
	v_add_co_ci_u32_e32 v9, vcc_lo, 0, v10, vcc_lo
	v_add_co_u32 v2, vcc_lo, v2, v8
	v_add_co_ci_u32_e32 v3, vcc_lo, v3, v9, vcc_lo
	v_mul_hi_u32 v8, s0, v2
	v_mul_lo_u32 v10, s26, v2
	v_mul_lo_u32 v9, s0, v3
	v_add_nc_u32_e32 v8, v8, v9
	v_mul_lo_u32 v9, s0, v2
	v_add_nc_u32_e32 v8, v8, v10
	v_mul_hi_u32 v10, v2, v9
	v_mul_lo_u32 v11, v2, v8
	v_mul_hi_u32 v12, v2, v8
	v_mul_hi_u32 v13, v3, v9
	v_mul_lo_u32 v9, v3, v9
	v_mul_hi_u32 v14, v3, v8
	v_mul_lo_u32 v8, v3, v8
	v_add_co_u32 v10, vcc_lo, v10, v11
	v_add_co_ci_u32_e32 v11, vcc_lo, 0, v12, vcc_lo
	v_add_co_u32 v9, vcc_lo, v10, v9
	v_add_co_ci_u32_e32 v9, vcc_lo, v11, v13, vcc_lo
	v_add_co_ci_u32_e32 v10, vcc_lo, 0, v14, vcc_lo
	v_add_co_u32 v8, vcc_lo, v9, v8
	v_add_co_ci_u32_e32 v9, vcc_lo, 0, v10, vcc_lo
	v_add_co_u32 v8, vcc_lo, v2, v8
	v_add_co_ci_u32_e32 v10, vcc_lo, v3, v9, vcc_lo
	v_mul_hi_u32 v12, v6, v8
	v_mad_u64_u32 v[8:9], null, v7, v8, 0
	v_mad_u64_u32 v[2:3], null, v6, v10, 0
	;; [unrolled: 1-line block ×3, first 2 shown]
	v_add_co_u32 v2, vcc_lo, v12, v2
	v_add_co_ci_u32_e32 v3, vcc_lo, 0, v3, vcc_lo
	v_add_co_u32 v2, vcc_lo, v2, v8
	v_add_co_ci_u32_e32 v2, vcc_lo, v3, v9, vcc_lo
	v_add_co_ci_u32_e32 v3, vcc_lo, 0, v11, vcc_lo
	v_add_co_u32 v8, vcc_lo, v2, v10
	v_add_co_ci_u32_e32 v9, vcc_lo, 0, v3, vcc_lo
	v_mul_lo_u32 v10, s25, v8
	v_mad_u64_u32 v[2:3], null, s24, v8, 0
	v_mul_lo_u32 v11, s24, v9
	v_sub_co_u32 v2, vcc_lo, v6, v2
	v_add3_u32 v3, v3, v11, v10
	v_sub_nc_u32_e32 v10, v7, v3
	v_subrev_co_ci_u32_e64 v10, s0, s25, v10, vcc_lo
	v_add_co_u32 v11, s0, v8, 2
	v_add_co_ci_u32_e64 v12, s0, 0, v9, s0
	v_sub_co_u32 v13, s0, v2, s24
	v_sub_co_ci_u32_e32 v3, vcc_lo, v7, v3, vcc_lo
	v_subrev_co_ci_u32_e64 v10, s0, 0, v10, s0
	v_cmp_le_u32_e32 vcc_lo, s24, v13
	v_cmp_eq_u32_e64 s0, s25, v3
	v_cndmask_b32_e64 v13, 0, -1, vcc_lo
	v_cmp_le_u32_e32 vcc_lo, s25, v10
	v_cndmask_b32_e64 v14, 0, -1, vcc_lo
	v_cmp_le_u32_e32 vcc_lo, s24, v2
	;; [unrolled: 2-line block ×3, first 2 shown]
	v_cndmask_b32_e64 v15, 0, -1, vcc_lo
	v_cmp_eq_u32_e32 vcc_lo, s25, v10
	v_cndmask_b32_e64 v2, v15, v2, s0
	v_cndmask_b32_e32 v10, v14, v13, vcc_lo
	v_add_co_u32 v13, vcc_lo, v8, 1
	v_add_co_ci_u32_e32 v14, vcc_lo, 0, v9, vcc_lo
	v_cmp_ne_u32_e32 vcc_lo, 0, v10
	v_cndmask_b32_e32 v3, v14, v12, vcc_lo
	v_cndmask_b32_e32 v10, v13, v11, vcc_lo
	v_cmp_ne_u32_e32 vcc_lo, 0, v2
	v_cndmask_b32_e32 v79, v9, v3, vcc_lo
	v_cndmask_b32_e32 v78, v8, v10, vcc_lo
.LBB0_4:                                ;   in Loop: Header=BB0_2 Depth=1
	s_andn2_saveexec_b32 s0, s1
	s_cbranch_execz .LBB0_6
; %bb.5:                                ;   in Loop: Header=BB0_2 Depth=1
	v_cvt_f32_u32_e32 v2, s24
	s_sub_i32 s1, 0, s24
	v_mov_b32_e32 v79, v1
	v_rcp_iflag_f32_e32 v2, v2
	v_mul_f32_e32 v2, 0x4f7ffffe, v2
	v_cvt_u32_f32_e32 v2, v2
	v_mul_lo_u32 v3, s1, v2
	v_mul_hi_u32 v3, v2, v3
	v_add_nc_u32_e32 v2, v2, v3
	v_mul_hi_u32 v2, v6, v2
	v_mul_lo_u32 v3, v2, s24
	v_add_nc_u32_e32 v8, 1, v2
	v_sub_nc_u32_e32 v3, v6, v3
	v_subrev_nc_u32_e32 v9, s24, v3
	v_cmp_le_u32_e32 vcc_lo, s24, v3
	v_cndmask_b32_e32 v3, v3, v9, vcc_lo
	v_cndmask_b32_e32 v2, v2, v8, vcc_lo
	v_cmp_le_u32_e32 vcc_lo, s24, v3
	v_add_nc_u32_e32 v8, 1, v2
	v_cndmask_b32_e32 v78, v2, v8, vcc_lo
.LBB0_6:                                ;   in Loop: Header=BB0_2 Depth=1
	s_or_b32 exec_lo, exec_lo, s0
	v_mul_lo_u32 v8, v79, s24
	v_mul_lo_u32 v9, v78, s25
	s_load_dwordx2 s[0:1], s[6:7], 0x0
	v_mad_u64_u32 v[2:3], null, v78, s24, 0
	s_load_dwordx2 s[24:25], s[2:3], 0x0
	s_add_u32 s22, s22, 1
	s_addc_u32 s23, s23, 0
	s_add_u32 s2, s2, 8
	s_addc_u32 s3, s3, 0
	s_add_u32 s6, s6, 8
	v_add3_u32 v3, v3, v9, v8
	v_sub_co_u32 v2, vcc_lo, v6, v2
	s_addc_u32 s7, s7, 0
	s_add_u32 s20, s20, 8
	v_sub_co_ci_u32_e32 v3, vcc_lo, v7, v3, vcc_lo
	s_addc_u32 s21, s21, 0
	s_waitcnt lgkmcnt(0)
	v_mul_lo_u32 v6, s0, v3
	v_mul_lo_u32 v7, s1, v2
	v_mad_u64_u32 v[4:5], null, s0, v2, v[4:5]
	v_mul_lo_u32 v3, s24, v3
	v_mul_lo_u32 v8, s25, v2
	v_mad_u64_u32 v[76:77], null, s24, v2, v[76:77]
	v_cmp_ge_u64_e64 s0, s[22:23], s[14:15]
	v_add3_u32 v5, v7, v5, v6
	v_add3_u32 v77, v8, v77, v3
	s_and_b32 vcc_lo, exec_lo, s0
	s_cbranch_vccnz .LBB0_8
; %bb.7:                                ;   in Loop: Header=BB0_2 Depth=1
	v_mov_b32_e32 v6, v78
	v_mov_b32_e32 v7, v79
	s_branch .LBB0_2
.LBB0_8:
	s_load_dwordx2 s[0:1], s[4:5], 0x28
	v_mul_hi_u32 v1, 0x3f03f04, v0
	s_lshl_b64 s[4:5], s[14:15], 3
                                        ; implicit-def: $sgpr6_sgpr7
                                        ; implicit-def: $vgpr82
	s_add_u32 s2, s18, s4
	s_addc_u32 s3, s19, s5
	s_waitcnt lgkmcnt(0)
	v_cmp_gt_u64_e32 vcc_lo, s[0:1], v[78:79]
	v_cmp_le_u64_e64 s0, s[0:1], v[78:79]
	s_and_saveexec_b32 s1, s0
	s_xor_b32 s0, exec_lo, s1
; %bb.9:
	v_mul_u32_u24_e32 v1, 0x41, v1
	s_mov_b64 s[6:7], 0
                                        ; implicit-def: $vgpr4_vgpr5
	v_sub_nc_u32_e32 v82, v0, v1
                                        ; implicit-def: $vgpr1
                                        ; implicit-def: $vgpr0
; %bb.10:
	s_or_saveexec_b32 s1, s0
	v_mov_b32_e32 v81, s7
	v_mov_b32_e32 v80, s6
                                        ; implicit-def: $vgpr6_vgpr7
                                        ; implicit-def: $vgpr10_vgpr11
                                        ; implicit-def: $vgpr14_vgpr15
                                        ; implicit-def: $vgpr18_vgpr19
                                        ; implicit-def: $vgpr22_vgpr23
                                        ; implicit-def: $vgpr26_vgpr27
                                        ; implicit-def: $vgpr30_vgpr31
                                        ; implicit-def: $vgpr34_vgpr35
                                        ; implicit-def: $vgpr38_vgpr39
                                        ; implicit-def: $vgpr50_vgpr51
                                        ; implicit-def: $vgpr58_vgpr59
                                        ; implicit-def: $vgpr42_vgpr43
                                        ; implicit-def: $vgpr2_vgpr3
	s_xor_b32 exec_lo, exec_lo, s1
	s_cbranch_execz .LBB0_12
; %bb.11:
	s_add_u32 s4, s16, s4
	s_addc_u32 s5, s17, s5
	v_mov_b32_e32 v83, 0
	s_load_dwordx2 s[4:5], s[4:5], 0x0
	s_waitcnt lgkmcnt(0)
	v_mul_lo_u32 v6, s5, v78
	v_mul_lo_u32 v7, s4, v79
	v_mad_u64_u32 v[2:3], null, s4, v78, 0
	v_add3_u32 v3, v3, v7, v6
	v_mul_u32_u24_e32 v6, 0x41, v1
	v_lshlrev_b64 v[1:2], 4, v[2:3]
	v_lshlrev_b64 v[3:4], 4, v[4:5]
	v_sub_nc_u32_e32 v82, v0, v6
	v_add_co_u32 v0, s0, s8, v1
	v_add_co_ci_u32_e64 v1, s0, s9, v2, s0
	v_lshlrev_b32_e32 v2, 4, v82
	v_add_co_u32 v0, s0, v0, v3
	v_add_co_ci_u32_e64 v1, s0, v1, v4, s0
	v_mov_b32_e32 v80, v82
	v_add_co_u32 v4, s0, v0, v2
	v_add_co_ci_u32_e64 v5, s0, 0, v1, s0
	v_mov_b32_e32 v81, v83
	v_add_co_u32 v6, s0, 0x800, v4
	v_add_co_ci_u32_e64 v7, s0, 0, v5, s0
	v_add_co_u32 v8, s0, 0x1000, v4
	v_add_co_ci_u32_e64 v9, s0, 0, v5, s0
	;; [unrolled: 2-line block ×5, first 2 shown]
	s_clause 0x1
	global_load_dwordx4 v[0:3], v[4:5], off
	global_load_dwordx4 v[40:43], v[4:5], off offset:1040
	v_add_co_u32 v4, s0, 0x3000, v4
	v_add_co_ci_u32_e64 v5, s0, 0, v5, s0
	s_clause 0xa
	global_load_dwordx4 v[56:59], v[6:7], off offset:32
	global_load_dwordx4 v[48:51], v[6:7], off offset:1072
	;; [unrolled: 1-line block ×11, first 2 shown]
.LBB0_12:
	s_or_b32 exec_lo, exec_lo, s1
	s_waitcnt vmcnt(11)
	v_add_f64 v[54:55], v[40:41], v[0:1]
	s_waitcnt vmcnt(0)
	v_add_f64 v[52:53], v[42:43], -v[6:7]
	s_mov_b32 s8, 0x42a4c3d2
	s_mov_b32 s38, 0x66966769
	;; [unrolled: 1-line block ×4, first 2 shown]
	v_add_f64 v[45:46], v[4:5], v[40:41]
	v_add_f64 v[60:61], v[58:59], -v[10:11]
	s_mov_b32 s4, 0x1ea71119
	s_mov_b32 s6, 0x2ef20147
	;; [unrolled: 1-line block ×8, first 2 shown]
	v_add_f64 v[62:63], v[8:9], v[56:57]
	v_add_f64 v[68:69], v[50:51], -v[14:15]
	s_mov_b32 s16, 0xb2365da1
	s_mov_b32 s22, 0x93053d00
	;; [unrolled: 1-line block ×4, first 2 shown]
	v_add_f64 v[54:55], v[56:57], v[54:55]
	v_mul_f64 v[64:65], v[52:53], s[8:9]
	v_mul_f64 v[66:67], v[52:53], s[38:39]
	s_mov_b32 s23, 0xbfef11f4
	s_mov_b32 s43, 0x3fedeba7
	;; [unrolled: 1-line block ×4, first 2 shown]
	v_mul_f64 v[85:86], v[60:61], s[6:7]
	v_mul_f64 v[87:88], v[60:61], s[30:31]
	v_add_f64 v[70:71], v[12:13], v[48:49]
	v_mul_f64 v[119:120], v[52:53], s[6:7]
	v_mul_f64 v[121:122], v[52:53], s[26:27]
	v_add_f64 v[72:73], v[38:39], -v[18:19]
	s_mov_b32 s44, 0x4267c47c
	v_mul_f64 v[135:136], v[52:53], s[30:31]
	s_mov_b32 s45, 0xbfddbe06
	s_mov_b32 s18, 0xd0032e0c
	v_mul_f64 v[99:100], v[68:69], s[30:31]
	v_mul_f64 v[101:102], v[68:69], s[42:43]
	;; [unrolled: 1-line block ×3, first 2 shown]
	s_mov_b32 s19, 0xbfe7f3cc
	s_mov_b32 s41, 0x3fe5384d
	v_add_f64 v[54:55], v[48:49], v[54:55]
	v_fma_f64 v[89:90], v[45:46], s[4:5], -v[64:65]
	v_fma_f64 v[91:92], v[45:46], s[14:15], -v[66:67]
	v_fma_f64 v[66:67], v[45:46], s[14:15], v[66:67]
	v_fma_f64 v[64:65], v[45:46], s[4:5], v[64:65]
	s_mov_b32 s25, 0x3fefc445
	s_mov_b32 s40, s26
	v_fma_f64 v[109:110], v[62:63], s[16:17], -v[85:86]
	v_fma_f64 v[111:112], v[62:63], s[22:23], -v[87:88]
	v_fma_f64 v[87:88], v[62:63], s[22:23], v[87:88]
	s_mov_b32 s24, s38
	s_mov_b32 s35, 0x3fddbe06
	;; [unrolled: 1-line block ×3, first 2 shown]
	v_mul_f64 v[123:124], v[60:61], s[40:41]
	v_mul_f64 v[125:126], v[60:61], s[24:25]
	v_fma_f64 v[85:86], v[62:63], s[16:17], v[85:86]
	v_fma_f64 v[143:144], v[45:46], s[16:17], v[119:120]
	v_fma_f64 v[139:140], v[70:71], s[22:23], -v[99:100]
	v_fma_f64 v[141:142], v[70:71], s[16:17], -v[101:102]
	v_fma_f64 v[145:146], v[45:46], s[18:19], v[121:122]
	v_add_f64 v[74:75], v[16:17], v[36:37]
	s_mov_b32 s20, 0xe00740e9
	v_add_f64 v[54:55], v[36:37], v[54:55]
	v_add_f64 v[89:90], v[0:1], v[89:90]
	;; [unrolled: 1-line block ×5, first 2 shown]
	v_mul_f64 v[105:106], v[72:73], s[34:35]
	v_mul_f64 v[137:138], v[60:61], s[34:35]
	v_fma_f64 v[155:156], v[45:46], s[22:23], v[135:136]
	v_fma_f64 v[135:136], v[45:46], s[22:23], -v[135:136]
	s_mov_b32 s21, 0x3fec55a7
	v_fma_f64 v[119:120], v[45:46], s[16:17], -v[119:120]
	v_fma_f64 v[121:122], v[45:46], s[18:19], -v[121:122]
	v_mul_f64 v[60:61], v[60:61], s[8:9]
	v_fma_f64 v[101:102], v[70:71], s[16:17], v[101:102]
	v_mul_f64 v[103:104], v[72:73], s[40:41]
	v_mul_f64 v[127:128], v[68:69], s[34:35]
	v_mul_f64 v[129:130], v[68:69], s[8:9]
	v_fma_f64 v[99:100], v[70:71], s[22:23], v[99:100]
	s_mov_b32 s37, 0x3fcea1e5
	s_mov_b32 s36, s30
	v_add_f64 v[83:84], v[34:35], -v[22:23]
	s_mov_b32 s29, 0x3fea55e2
	v_add_f64 v[54:55], v[32:33], v[54:55]
	v_add_f64 v[89:90], v[109:110], v[89:90]
	;; [unrolled: 1-line block ×4, first 2 shown]
	v_fma_f64 v[87:88], v[45:46], s[20:21], v[52:53]
	v_fma_f64 v[45:46], v[45:46], s[20:21], -v[52:53]
	v_add_f64 v[64:65], v[85:86], v[64:65]
	v_mul_f64 v[109:110], v[68:69], s[26:27]
	v_fma_f64 v[149:150], v[74:75], s[20:21], -v[105:106]
	v_add_f64 v[135:136], v[0:1], v[135:136]
	v_add_f64 v[119:120], v[0:1], v[119:120]
	;; [unrolled: 1-line block ×3, first 2 shown]
	v_mul_f64 v[68:69], v[68:69], s[38:39]
	s_mov_b32 s28, s8
	v_mul_f64 v[131:132], v[72:73], s[38:39]
	v_mul_f64 v[133:134], v[72:73], s[36:37]
	v_fma_f64 v[147:148], v[74:75], s[18:19], -v[103:104]
	v_fma_f64 v[103:104], v[74:75], s[18:19], v[103:104]
	v_mul_f64 v[111:112], v[72:73], s[28:29]
	v_mul_f64 v[72:73], v[72:73], s[6:7]
	v_add_f64 v[93:94], v[20:21], v[32:33]
	v_add_f64 v[95:96], v[30:31], -v[26:27]
	v_add_f64 v[52:53], v[28:29], v[54:55]
	v_add_f64 v[85:86], v[139:140], v[89:90]
	;; [unrolled: 1-line block ×3, first 2 shown]
	v_fma_f64 v[91:92], v[62:63], s[18:19], v[123:124]
	v_fma_f64 v[139:140], v[62:63], s[14:15], v[125:126]
	v_add_f64 v[141:142], v[0:1], v[143:144]
	v_add_f64 v[143:144], v[0:1], v[145:146]
	v_fma_f64 v[54:55], v[74:75], s[20:21], v[105:106]
	v_fma_f64 v[105:106], v[62:63], s[20:21], v[137:138]
	v_fma_f64 v[137:138], v[62:63], s[20:21], -v[137:138]
	v_add_f64 v[145:146], v[0:1], v[155:156]
	v_fma_f64 v[123:124], v[62:63], s[18:19], -v[123:124]
	v_fma_f64 v[125:126], v[62:63], s[14:15], -v[125:126]
	v_fma_f64 v[155:156], v[62:63], s[4:5], v[60:61]
	v_add_f64 v[66:67], v[101:102], v[66:67]
	v_add_f64 v[87:88], v[0:1], v[87:88]
	v_fma_f64 v[60:61], v[62:63], s[4:5], -v[60:61]
	v_add_f64 v[0:1], v[0:1], v[45:46]
	v_add_f64 v[64:65], v[99:100], v[64:65]
	v_fma_f64 v[99:100], v[70:71], s[20:21], v[127:128]
	v_fma_f64 v[101:102], v[70:71], s[4:5], v[129:130]
	v_fma_f64 v[127:128], v[70:71], s[20:21], -v[127:128]
	v_add_f64 v[45:46], v[24:25], v[52:53]
	v_fma_f64 v[129:130], v[70:71], s[4:5], -v[129:130]
	v_mul_f64 v[107:108], v[83:84], s[24:25]
	v_mul_f64 v[113:114], v[83:84], s[8:9]
	v_add_f64 v[97:98], v[24:25], v[28:29]
	v_add_f64 v[91:92], v[91:92], v[141:142]
	;; [unrolled: 1-line block ×3, first 2 shown]
	v_fma_f64 v[141:142], v[70:71], s[18:19], v[109:110]
	v_fma_f64 v[109:110], v[70:71], s[18:19], -v[109:110]
	v_add_f64 v[135:136], v[137:138], v[135:136]
	v_add_f64 v[105:106], v[105:106], v[145:146]
	;; [unrolled: 1-line block ×4, first 2 shown]
	v_fma_f64 v[123:124], v[74:75], s[4:5], v[111:112]
	v_add_f64 v[54:55], v[54:55], v[66:67]
	v_add_f64 v[66:67], v[155:156], v[87:88]
	v_fma_f64 v[87:88], v[70:71], s[14:15], v[68:69]
	v_fma_f64 v[68:69], v[70:71], s[14:15], -v[68:69]
	v_add_f64 v[0:1], v[60:61], v[0:1]
	v_add_f64 v[64:65], v[103:104], v[64:65]
	v_fma_f64 v[60:61], v[74:75], s[14:15], v[131:132]
	v_fma_f64 v[70:71], v[74:75], s[22:23], v[133:134]
	v_add_f64 v[45:46], v[20:21], v[45:46]
	v_mul_f64 v[103:104], v[83:84], s[34:35]
	v_fma_f64 v[111:112], v[74:75], s[4:5], -v[111:112]
	v_mul_f64 v[125:126], v[83:84], s[6:7]
	v_mul_f64 v[115:116], v[95:96], s[34:35]
	v_add_f64 v[91:92], v[99:100], v[91:92]
	v_add_f64 v[99:100], v[101:102], v[139:140]
	v_mul_f64 v[101:102], v[83:84], s[36:37]
	v_mul_f64 v[83:84], v[83:84], s[26:27]
	v_add_f64 v[109:110], v[109:110], v[135:136]
	v_add_f64 v[105:106], v[141:142], v[105:106]
	;; [unrolled: 1-line block ×4, first 2 shown]
	v_fma_f64 v[127:128], v[74:75], s[14:15], -v[131:132]
	v_fma_f64 v[129:130], v[74:75], s[22:23], -v[133:134]
	v_mul_f64 v[117:118], v[95:96], s[26:27]
	v_add_f64 v[66:67], v[87:88], v[66:67]
	v_fma_f64 v[87:88], v[74:75], s[16:17], v[72:73]
	v_fma_f64 v[72:73], v[74:75], s[16:17], -v[72:73]
	v_add_f64 v[0:1], v[68:69], v[0:1]
	v_fma_f64 v[151:152], v[93:94], s[14:15], -v[107:108]
	v_fma_f64 v[153:154], v[93:94], s[4:5], -v[113:114]
	v_add_f64 v[45:46], v[16:17], v[45:46]
	v_add_f64 v[89:90], v[149:150], v[89:90]
	v_fma_f64 v[107:108], v[93:94], s[14:15], v[107:108]
	v_fma_f64 v[113:114], v[93:94], s[4:5], v[113:114]
	;; [unrolled: 1-line block ×3, first 2 shown]
	v_add_f64 v[60:61], v[60:61], v[91:92]
	v_add_f64 v[68:69], v[70:71], v[99:100]
	v_fma_f64 v[70:71], v[93:94], s[22:23], v[101:102]
	v_mul_f64 v[91:92], v[95:96], s[28:29]
	v_mul_f64 v[99:100], v[95:96], s[6:7]
	v_add_f64 v[105:106], v[123:124], v[105:106]
	v_add_f64 v[109:110], v[111:112], v[109:110]
	v_fma_f64 v[111:112], v[93:94], s[16:17], v[125:126]
	v_fma_f64 v[123:124], v[93:94], s[16:17], -v[125:126]
	v_mul_f64 v[125:126], v[95:96], s[24:25]
	v_add_f64 v[119:120], v[127:128], v[119:120]
	v_add_f64 v[121:122], v[129:130], v[121:122]
	v_fma_f64 v[101:102], v[93:94], s[22:23], -v[101:102]
	v_fma_f64 v[103:104], v[93:94], s[20:21], -v[103:104]
	v_add_f64 v[85:86], v[147:148], v[85:86]
	v_add_f64 v[66:67], v[87:88], v[66:67]
	v_fma_f64 v[87:88], v[93:94], s[18:19], v[83:84]
	v_mul_f64 v[95:96], v[95:96], s[30:31]
	v_fma_f64 v[83:84], v[93:94], s[18:19], -v[83:84]
	v_add_f64 v[0:1], v[72:73], v[0:1]
	v_add_f64 v[45:46], v[12:13], v[45:46]
	v_mul_hi_u32 v47, 0xaaaaaaab, v44
	v_fma_f64 v[62:63], v[97:98], s[18:19], -v[117:118]
	v_add_f64 v[89:90], v[153:154], v[89:90]
	v_add_f64 v[64:65], v[107:108], v[64:65]
	;; [unrolled: 1-line block ×3, first 2 shown]
	v_fma_f64 v[72:73], v[97:98], s[20:21], v[115:116]
	v_fma_f64 v[93:94], v[97:98], s[18:19], v[117:118]
	v_add_f64 v[60:61], v[70:71], v[60:61]
	v_add_f64 v[68:69], v[74:75], v[68:69]
	v_fma_f64 v[70:71], v[97:98], s[4:5], v[91:92]
	v_fma_f64 v[74:75], v[97:98], s[16:17], v[99:100]
	v_add_f64 v[105:106], v[111:112], v[105:106]
	v_add_f64 v[107:108], v[123:124], v[109:110]
	v_fma_f64 v[109:110], v[97:98], s[14:15], v[125:126]
	v_fma_f64 v[111:112], v[97:98], s[14:15], -v[125:126]
	v_add_f64 v[101:102], v[101:102], v[119:120]
	v_add_f64 v[103:104], v[103:104], v[121:122]
	v_fma_f64 v[113:114], v[97:98], s[4:5], -v[91:92]
	v_fma_f64 v[99:100], v[97:98], s[16:17], -v[99:100]
	;; [unrolled: 1-line block ×3, first 2 shown]
	v_add_f64 v[85:86], v[151:152], v[85:86]
	v_add_f64 v[66:67], v[87:88], v[66:67]
	v_fma_f64 v[87:88], v[97:98], s[22:23], v[95:96]
	v_fma_f64 v[95:96], v[97:98], s[22:23], -v[95:96]
	v_add_f64 v[0:1], v[83:84], v[0:1]
	v_add_f64 v[83:84], v[8:9], v[45:46]
	v_lshrrev_b32_e32 v47, 1, v47
	s_load_dwordx2 s[2:3], s[2:3], 0x0
	v_add_f64 v[54:55], v[93:94], v[54:55]
	v_cmp_gt_u32_e64 s0, 39, v82
	v_lshl_add_u32 v47, v47, 1, v47
	v_add_f64 v[60:61], v[70:71], v[60:61]
	v_sub_nc_u32_e32 v44, v44, v47
	v_add_f64 v[70:71], v[111:112], v[107:108]
	v_mul_u32_u24_e32 v91, 0x34d, v44
	v_add_f64 v[44:45], v[62:63], v[89:90]
	v_add_f64 v[62:63], v[72:73], v[64:65]
	;; [unrolled: 1-line block ×7, first 2 shown]
	v_lshl_add_u32 v85, v91, 3, 0
	v_add_f64 v[52:53], v[95:96], v[0:1]
	v_add_f64 v[66:67], v[87:88], v[66:67]
	;; [unrolled: 1-line block ×3, first 2 shown]
                                        ; implicit-def: $vgpr83_vgpr84
	v_mad_u32_u24 v92, 0x68, v82, v85
	v_lshl_add_u32 v89, v82, 3, v85
	ds_write2_b64 v92, v[62:63], v[54:55] offset0:2 offset1:3
	ds_write2_b64 v92, v[60:61], v[64:65] offset0:4 offset1:5
	;; [unrolled: 1-line block ×5, first 2 shown]
	ds_write_b64 v92, v[52:53] offset:96
	ds_write2_b64 v92, v[0:1], v[66:67] offset1:1
	v_mad_i32_i24 v90, 0xffffffa0, v82, v92
	s_waitcnt lgkmcnt(0)
	s_barrier
	buffer_gl0_inv
	v_add_nc_u32_e32 v93, 0x400, v90
	v_add_nc_u32_e32 v94, 0x800, v90
	;; [unrolled: 1-line block ×3, first 2 shown]
	ds_read_b64 v[85:86], v89
	ds_read_b64 v[87:88], v90 offset:5928
	ds_read2_b64 v[60:63], v90 offset0:65 offset1:169
	ds_read2_b64 v[64:67], v93 offset0:106 offset1:210
	;; [unrolled: 1-line block ×4, first 2 shown]
	s_and_saveexec_b32 s1, s0
	s_cbranch_execz .LBB0_14
; %bb.13:
	v_add_nc_u32_e32 v0, 0xc00, v90
	ds_read2_b64 v[44:47], v93 offset0:2 offset1:171
	ds_read2_b64 v[52:55], v0 offset0:84 offset1:253
	ds_read_b64 v[83:84], v90 offset:6448
.LBB0_14:
	s_or_b32 exec_lo, exec_lo, s1
	v_add_f64 v[0:1], v[42:43], v[2:3]
	v_add_f64 v[4:5], v[40:41], -v[4:5]
	v_add_f64 v[8:9], v[56:57], -v[8:9]
	v_add_f64 v[40:41], v[6:7], v[42:43]
	v_add_f64 v[12:13], v[48:49], -v[12:13]
	v_add_f64 v[42:43], v[10:11], v[58:59]
	v_add_f64 v[48:49], v[14:15], v[50:51]
	v_add_f64 v[24:25], v[28:29], -v[24:25]
	v_add_f64 v[16:17], v[36:37], -v[16:17]
	v_add_f64 v[36:37], v[22:23], v[34:35]
	v_add_f64 v[20:21], v[32:33], -v[20:21]
	v_add_f64 v[32:33], v[26:27], v[30:31]
	v_add_f64 v[56:57], v[18:19], v[38:39]
	s_waitcnt lgkmcnt(0)
	s_barrier
	buffer_gl0_inv
	v_add_f64 v[0:1], v[58:59], v[0:1]
	v_mul_f64 v[28:29], v[4:5], s[44:45]
	v_mul_f64 v[58:59], v[4:5], s[38:39]
	;; [unrolled: 1-line block ×21, first 2 shown]
	v_add_f64 v[0:1], v[50:51], v[0:1]
	v_mul_f64 v[50:51], v[4:5], s[8:9]
	v_mul_f64 v[4:5], v[4:5], s[30:31]
	v_fma_f64 v[148:149], v[40:41], s[20:21], -v[28:29]
	v_fma_f64 v[152:153], v[40:41], s[14:15], -v[58:59]
	;; [unrolled: 1-line block ×3, first 2 shown]
	v_fma_f64 v[98:99], v[40:41], s[18:19], v[98:99]
	v_fma_f64 v[58:59], v[40:41], s[14:15], v[58:59]
	;; [unrolled: 1-line block ×3, first 2 shown]
	v_fma_f64 v[158:159], v[42:43], s[16:17], -v[102:103]
	v_fma_f64 v[102:103], v[42:43], s[16:17], v[102:103]
	v_fma_f64 v[160:161], v[42:43], s[22:23], -v[104:105]
	v_fma_f64 v[104:105], v[42:43], s[22:23], v[104:105]
	;; [unrolled: 2-line block ×5, first 2 shown]
	v_fma_f64 v[168:169], v[48:49], s[22:23], -v[112:113]
	v_fma_f64 v[170:171], v[48:49], s[20:21], -v[116:117]
	v_fma_f64 v[116:117], v[48:49], s[20:21], v[116:117]
	v_add_f64 v[0:1], v[38:39], v[0:1]
	v_fma_f64 v[150:151], v[40:41], s[4:5], -v[50:51]
	v_fma_f64 v[50:51], v[40:41], s[4:5], v[50:51]
	v_fma_f64 v[156:157], v[40:41], s[22:23], -v[4:5]
	v_fma_f64 v[4:5], v[40:41], s[22:23], v[4:5]
	;; [unrolled: 2-line block ×4, first 2 shown]
	v_add_f64 v[98:99], v[2:3], v[98:99]
	v_add_f64 v[58:59], v[2:3], v[58:59]
	v_mul_f64 v[38:39], v[16:17], s[38:39]
	v_mul_f64 v[16:17], v[16:17], s[28:29]
	;; [unrolled: 1-line block ×5, first 2 shown]
	v_fma_f64 v[178:179], v[56:57], s[22:23], -v[126:127]
	v_mul_f64 v[128:129], v[20:21], s[26:27]
	v_mul_f64 v[20:21], v[20:21], s[6:7]
	;; [unrolled: 1-line block ×5, first 2 shown]
	v_add_f64 v[0:1], v[34:35], v[0:1]
	v_fma_f64 v[34:35], v[40:41], s[16:17], -v[96:97]
	v_fma_f64 v[96:97], v[40:41], s[16:17], v[96:97]
	v_fma_f64 v[40:41], v[42:43], s[4:5], -v[100:101]
	v_fma_f64 v[100:101], v[42:43], s[4:5], v[100:101]
	;; [unrolled: 2-line block ×3, first 2 shown]
	v_add_f64 v[50:51], v[2:3], v[50:51]
	v_add_f64 v[4:5], v[2:3], v[4:5]
	v_mul_f64 v[144:145], v[24:25], s[28:29]
	v_add_f64 v[58:59], v[104:105], v[58:59]
	v_fma_f64 v[176:177], v[56:57], s[14:15], -v[38:39]
	v_fma_f64 v[38:39], v[56:57], s[14:15], v[38:39]
	v_mul_f64 v[146:147], v[24:25], s[6:7]
	v_mul_f64 v[24:25], v[24:25], s[24:25]
	v_fma_f64 v[104:105], v[36:37], s[14:15], -v[130:131]
	v_add_f64 v[0:1], v[30:31], v[0:1]
	v_fma_f64 v[30:31], v[48:49], s[22:23], v[112:113]
	v_fma_f64 v[112:113], v[48:49], s[16:17], -v[114:115]
	v_fma_f64 v[114:115], v[48:49], s[16:17], v[114:115]
	v_add_f64 v[48:49], v[2:3], v[148:149]
	v_add_f64 v[148:149], v[2:3], v[150:151]
	;; [unrolled: 1-line block ×11, first 2 shown]
	v_fma_f64 v[28:29], v[56:57], s[16:17], v[120:121]
	v_fma_f64 v[156:157], v[56:57], s[20:21], -v[124:125]
	v_fma_f64 v[98:99], v[56:57], s[4:5], -v[16:17]
	v_fma_f64 v[16:17], v[56:57], s[4:5], v[16:17]
	v_fma_f64 v[124:125], v[56:57], s[20:21], v[124:125]
	;; [unrolled: 1-line block ×3, first 2 shown]
	v_add_f64 v[0:1], v[26:27], v[0:1]
	v_fma_f64 v[26:27], v[56:57], s[16:17], -v[120:121]
	v_fma_f64 v[120:121], v[56:57], s[18:19], -v[122:123]
	v_fma_f64 v[122:123], v[56:57], s[18:19], v[122:123]
	v_add_f64 v[40:41], v[40:41], v[48:49]
	v_add_f64 v[48:49], v[158:159], v[148:149]
	;; [unrolled: 1-line block ×12, first 2 shown]
	v_fma_f64 v[58:59], v[36:37], s[22:23], v[134:135]
	v_fma_f64 v[100:101], v[36:37], s[18:19], v[128:129]
	v_fma_f64 v[114:115], v[32:33], s[22:23], v[138:139]
	v_fma_f64 v[118:119], v[32:33], s[14:15], -v[24:25]
	v_fma_f64 v[24:25], v[32:33], s[14:15], v[24:25]
	v_add_f64 v[0:1], v[22:23], v[0:1]
	v_fma_f64 v[22:23], v[56:57], s[22:23], v[126:127]
	v_fma_f64 v[126:127], v[36:37], s[4:5], -v[132:133]
	v_fma_f64 v[56:57], v[36:37], s[18:19], -v[128:129]
	v_add_f64 v[40:41], v[42:43], v[40:41]
	v_add_f64 v[42:43], v[168:169], v[48:49]
	v_add_f64 v[48:49], v[112:113], v[102:103]
	v_add_f64 v[34:35], v[170:171], v[34:35]
	v_add_f64 v[50:51], v[116:117], v[96:97]
	v_add_f64 v[96:97], v[172:173], v[106:107]
	v_add_f64 v[102:103], v[174:175], v[148:149]
	v_add_f64 v[2:3], v[110:111], v[2:3]
	v_add_f64 v[30:31], v[122:123], v[30:31]
	v_fma_f64 v[106:107], v[36:37], s[20:21], -v[136:137]
	v_fma_f64 v[112:113], v[36:37], s[16:17], -v[20:21]
	v_fma_f64 v[20:21], v[36:37], s[16:17], v[20:21]
	v_add_f64 v[4:5], v[16:17], v[4:5]
	v_fma_f64 v[110:111], v[36:37], s[20:21], v[136:137]
	v_fma_f64 v[128:129], v[36:37], s[4:5], v[132:133]
	v_add_f64 v[12:13], v[124:125], v[12:13]
	v_fma_f64 v[116:117], v[32:33], s[20:21], -v[140:141]
	v_fma_f64 v[16:17], v[32:33], s[18:19], -v[142:143]
	v_add_f64 v[0:1], v[18:19], v[0:1]
	v_fma_f64 v[18:19], v[36:37], s[22:23], -v[134:135]
	v_add_f64 v[8:9], v[22:23], v[8:9]
	;; [unrolled: 2-line block ×3, first 2 shown]
	v_add_f64 v[40:41], v[120:121], v[42:43]
	v_add_f64 v[42:43], v[156:157], v[48:49]
	;; [unrolled: 1-line block ×7, first 2 shown]
	v_fma_f64 v[22:23], v[32:33], s[18:19], v[142:143]
	v_fma_f64 v[28:29], v[32:33], s[4:5], -v[144:145]
	v_fma_f64 v[96:97], v[32:33], s[4:5], v[144:145]
	v_fma_f64 v[98:99], v[32:33], s[16:17], -v[146:147]
	v_fma_f64 v[102:103], v[32:33], s[16:17], v[146:147]
	v_add_f64 v[30:31], v[108:109], v[30:31]
	v_add_f64 v[4:5], v[20:21], v[4:5]
	;; [unrolled: 1-line block ×4, first 2 shown]
	v_fma_f64 v[14:15], v[32:33], s[20:21], v[140:141]
	v_add_f64 v[8:9], v[110:111], v[8:9]
	v_add_f64 v[26:27], v[56:57], v[26:27]
	;; [unrolled: 1-line block ×23, first 2 shown]
	ds_write2_b64 v92, v[32:33], v[14:15] offset0:2 offset1:3
	ds_write2_b64 v92, v[16:17], v[28:29] offset0:4 offset1:5
	;; [unrolled: 1-line block ×5, first 2 shown]
	ds_write_b64 v92, v[8:9] offset:96
	ds_write2_b64 v92, v[6:7], v[26:27] offset1:1
	s_waitcnt lgkmcnt(0)
	s_barrier
	buffer_gl0_inv
	ds_read2_b64 v[4:7], v90 offset0:65 offset1:169
	ds_read2_b64 v[16:19], v93 offset0:106 offset1:210
	;; [unrolled: 1-line block ×4, first 2 shown]
	ds_read_b64 v[24:25], v89
	ds_read_b64 v[56:57], v90 offset:5928
                                        ; implicit-def: $vgpr26_vgpr27
	s_and_saveexec_b32 s1, s0
	s_cbranch_execz .LBB0_16
; %bb.15:
	v_add_nc_u32_e32 v0, 0x400, v90
	v_add_nc_u32_e32 v8, 0xc00, v90
	ds_read2_b64 v[0:3], v0 offset0:2 offset1:171
	ds_read2_b64 v[8:11], v8 offset0:84 offset1:253
	ds_read_b64 v[26:27], v90 offset:6448
.LBB0_16:
	s_or_b32 exec_lo, exec_lo, s1
	v_add_nc_u16 v28, v82, 0x41
	v_and_b32_e32 v29, 0xff, v82
	v_mov_b32_e32 v32, 6
	s_mov_b32 s8, 0x134454ff
	s_mov_b32 s9, 0xbfee6f0e
	v_and_b32_e32 v30, 0xff, v28
	v_mul_lo_u16 v29, 0x4f, v29
	s_mov_b32 s17, 0x3fee6f0e
	s_mov_b32 s16, s8
	;; [unrolled: 1-line block ×3, first 2 shown]
	v_mul_lo_u16 v30, 0x4f, v30
	v_lshrrev_b16 v141, 10, v29
	s_mov_b32 s5, 0xbfe2cf23
	s_mov_b32 s7, 0x3fe2cf23
	;; [unrolled: 1-line block ×3, first 2 shown]
	v_lshrrev_b16 v142, 10, v30
	v_mul_lo_u16 v29, v141, 13
	s_mov_b32 s14, 0x372fe950
	s_mov_b32 s15, 0x3fd3c6ef
	v_mul_lo_u16 v30, v142, 13
	v_sub_nc_u16 v143, v82, v29
	v_sub_nc_u16 v144, v28, v30
	v_lshlrev_b32_sdwa v33, v32, v143 dst_sel:DWORD dst_unused:UNUSED_PAD src0_sel:DWORD src1_sel:BYTE_0
	v_lshlrev_b32_sdwa v34, v32, v144 dst_sel:DWORD dst_unused:UNUSED_PAD src0_sel:DWORD src1_sel:BYTE_0
	s_clause 0x7
	global_load_dwordx4 v[28:31], v33, s[12:13]
	global_load_dwordx4 v[93:96], v33, s[12:13] offset:16
	global_load_dwordx4 v[97:100], v33, s[12:13] offset:32
	;; [unrolled: 1-line block ×3, first 2 shown]
	global_load_dwordx4 v[105:108], v34, s[12:13]
	global_load_dwordx4 v[109:112], v34, s[12:13] offset:16
	global_load_dwordx4 v[113:116], v34, s[12:13] offset:32
	;; [unrolled: 1-line block ×3, first 2 shown]
	v_add_nc_u16 v33, v82, 0x82
	v_and_b32_e32 v34, 0xff, v33
	v_mul_lo_u16 v34, 0x4f, v34
	v_lshrrev_b16 v145, 10, v34
	v_mul_lo_u16 v34, v145, 13
	v_sub_nc_u16 v92, v33, v34
	v_lshlrev_b32_sdwa v32, v32, v92 dst_sel:DWORD dst_unused:UNUSED_PAD src0_sel:DWORD src1_sel:BYTE_0
	s_clause 0x3
	global_load_dwordx4 v[121:124], v32, s[12:13]
	global_load_dwordx4 v[125:128], v32, s[12:13] offset:16
	global_load_dwordx4 v[129:132], v32, s[12:13] offset:32
	;; [unrolled: 1-line block ×3, first 2 shown]
	s_waitcnt vmcnt(0) lgkmcnt(0)
	s_barrier
	buffer_gl0_inv
	v_mul_f64 v[32:33], v[6:7], v[30:31]
	v_mul_f64 v[36:37], v[18:19], v[95:96]
	v_mul_f64 v[38:39], v[22:23], v[99:100]
	v_mul_f64 v[40:41], v[14:15], v[103:104]
	v_mul_f64 v[50:51], v[16:17], v[107:108]
	v_mul_f64 v[58:59], v[20:21], v[111:112]
	v_mul_f64 v[137:138], v[12:13], v[115:116]
	v_mul_f64 v[139:140], v[56:57], v[119:120]
	v_mul_f64 v[30:31], v[62:63], v[30:31]
	v_mul_f64 v[95:96], v[66:67], v[95:96]
	v_mul_f64 v[99:100], v[70:71], v[99:100]
	v_mul_f64 v[103:104], v[74:75], v[103:104]
	v_mul_f64 v[111:112], v[68:69], v[111:112]
	v_mul_f64 v[119:120], v[87:88], v[119:120]
	v_mul_f64 v[107:108], v[64:65], v[107:108]
	v_mul_f64 v[115:116], v[72:73], v[115:116]
	v_fma_f64 v[34:35], v[62:63], v[28:29], v[32:33]
	v_fma_f64 v[36:37], v[66:67], v[93:94], v[36:37]
	;; [unrolled: 1-line block ×8, first 2 shown]
	v_fma_f64 v[30:31], v[6:7], v[28:29], -v[30:31]
	v_fma_f64 v[28:29], v[18:19], v[93:94], -v[95:96]
	;; [unrolled: 1-line block ×8, first 2 shown]
	v_mul_f64 v[111:112], v[2:3], v[123:124]
	v_mul_f64 v[113:114], v[46:47], v[123:124]
	;; [unrolled: 1-line block ×4, first 2 shown]
	v_add_f64 v[64:65], v[85:86], v[34:35]
	v_add_f64 v[87:88], v[36:37], -v[34:35]
	v_add_f64 v[22:23], v[36:37], v[42:43]
	v_add_f64 v[56:57], v[34:35], v[48:49]
	;; [unrolled: 1-line block ×3, first 2 shown]
	v_add_f64 v[93:94], v[42:43], -v[48:49]
	v_add_f64 v[58:59], v[32:33], v[40:41]
	v_add_f64 v[62:63], v[38:39], v[50:51]
	v_add_f64 v[95:96], v[38:39], -v[32:33]
	v_add_f64 v[97:98], v[50:51], -v[40:41]
	;; [unrolled: 1-line block ×8, first 2 shown]
	v_mul_f64 v[119:120], v[10:11], v[131:132]
	v_mul_f64 v[123:124], v[54:55], v[131:132]
	;; [unrolled: 1-line block ×3, first 2 shown]
	v_add_f64 v[64:65], v[64:65], v[36:37]
	v_fma_f64 v[22:23], v[22:23], -0.5, v[85:86]
	v_fma_f64 v[56:57], v[56:57], -0.5, v[85:86]
	v_add_f64 v[85:86], v[48:49], -v[42:43]
	v_add_f64 v[70:71], v[70:71], v[32:33]
	v_fma_f64 v[58:59], v[58:59], -0.5, v[60:61]
	v_fma_f64 v[60:61], v[62:63], -0.5, v[60:61]
	v_add_f64 v[62:63], v[34:35], -v[36:37]
	v_add_f64 v[87:88], v[87:88], v[93:94]
	v_add_f64 v[93:94], v[95:96], v[97:98]
	;; [unrolled: 1-line block ×3, first 2 shown]
	v_fma_f64 v[54:55], v[54:55], v[129:130], v[119:120]
	v_add_f64 v[97:98], v[64:65], v[42:43]
	v_fma_f64 v[64:65], v[83:84], v[133:134], v[127:128]
	v_fma_f64 v[103:104], v[66:67], s[8:9], v[22:23]
	;; [unrolled: 1-line block ×9, first 2 shown]
	v_add_f64 v[85:86], v[62:63], v[85:86]
	v_add_f64 v[70:71], v[70:71], v[40:41]
	v_fma_f64 v[62:63], v[52:53], v[125:126], v[115:116]
	v_fma_f64 v[99:100], v[68:69], s[4:5], v[103:104]
	v_fma_f64 v[22:23], v[68:69], s[6:7], v[22:23]
	v_fma_f64 v[68:69], v[66:67], s[4:5], v[105:106]
	v_mul_f64 v[105:106], v[83:84], v[135:136]
	v_fma_f64 v[66:67], v[66:67], s[6:7], v[56:57]
	v_fma_f64 v[101:102], v[74:75], s[4:5], v[107:108]
	;; [unrolled: 1-line block ×6, first 2 shown]
	v_fma_f64 v[58:59], v[2:3], v[121:122], -v[113:114]
	v_fma_f64 v[56:57], v[8:9], v[125:126], -v[117:118]
	;; [unrolled: 1-line block ×3, first 2 shown]
	v_add_f64 v[8:9], v[97:98], v[48:49]
	v_add_f64 v[10:11], v[70:71], v[50:51]
	v_and_b32_e32 v107, 0xffff, v141
	v_mov_b32_e32 v2, 3
	v_and_b32_e32 v3, 0xffff, v142
	v_lshlrev_b32_sdwa v70, v2, v144 dst_sel:DWORD dst_unused:UNUSED_PAD src0_sel:DWORD src1_sel:BYTE_0
	v_fma_f64 v[52:53], v[85:86], s[14:15], v[99:100]
	v_fma_f64 v[22:23], v[85:86], s[14:15], v[22:23]
	;; [unrolled: 1-line block ×3, first 2 shown]
	v_fma_f64 v[26:27], v[26:27], v[133:134], -v[105:106]
	v_fma_f64 v[85:86], v[87:88], s[14:15], v[66:67]
	v_fma_f64 v[87:88], v[93:94], s[14:15], v[101:102]
	;; [unrolled: 1-line block ×5, first 2 shown]
	v_lshlrev_b32_e32 v67, 3, v91
	v_mad_u32_u24 v66, 0x208, v107, 0
	v_lshlrev_b32_sdwa v69, v2, v143 dst_sel:DWORD dst_unused:UNUSED_PAD src0_sel:DWORD src1_sel:BYTE_0
	v_mad_u32_u24 v3, 0x208, v3, 0
	v_and_b32_e32 v68, 0xffff, v145
	v_add3_u32 v69, v66, v69, v67
	v_add3_u32 v70, v3, v70, v67
	ds_write2_b64 v69, v[8:9], v[52:53] offset1:13
	ds_write2_b64 v69, v[83:84], v[85:86] offset0:26 offset1:39
	ds_write_b64 v69, v[22:23] offset:416
	ds_write2_b64 v70, v[10:11], v[87:88] offset1:13
	ds_write2_b64 v70, v[97:98], v[71:72] offset0:26 offset1:39
	ds_write_b64 v70, v[73:74] offset:416
	s_and_saveexec_b32 s1, s0
	s_cbranch_execz .LBB0_18
; %bb.17:
	v_add_f64 v[10:11], v[62:63], v[54:55]
	v_add_f64 v[8:9], v[60:61], v[64:65]
	v_add_f64 v[22:23], v[58:59], -v[26:27]
	v_add_f64 v[71:72], v[44:45], v[60:61]
	v_add_f64 v[52:53], v[56:57], -v[46:47]
	v_add_f64 v[73:74], v[54:55], -v[64:65]
	v_add_f64 v[83:84], v[60:61], -v[62:63]
	v_add_f64 v[85:86], v[64:65], -v[54:55]
	v_mad_u32_u24 v3, 0x208, v68, 0
	v_lshlrev_b32_sdwa v2, v2, v92 dst_sel:DWORD dst_unused:UNUSED_PAD src0_sel:DWORD src1_sel:BYTE_0
	v_add3_u32 v2, v3, v2, v67
	v_fma_f64 v[10:11], v[10:11], -0.5, v[44:45]
	v_fma_f64 v[8:9], v[8:9], -0.5, v[44:45]
	v_add_f64 v[44:45], v[62:63], -v[60:61]
	v_add_f64 v[71:72], v[71:72], v[62:63]
	v_fma_f64 v[93:94], v[22:23], s[8:9], v[10:11]
	v_fma_f64 v[87:88], v[52:53], s[8:9], v[8:9]
	;; [unrolled: 1-line block ×4, first 2 shown]
	v_add_f64 v[44:45], v[44:45], v[73:74]
	v_add_f64 v[73:74], v[83:84], v[85:86]
	;; [unrolled: 1-line block ×3, first 2 shown]
	v_fma_f64 v[85:86], v[52:53], s[4:5], v[93:94]
	v_fma_f64 v[83:84], v[22:23], s[6:7], v[87:88]
	;; [unrolled: 1-line block ×4, first 2 shown]
	v_add_f64 v[22:23], v[71:72], v[64:65]
	v_fma_f64 v[71:72], v[73:74], s[14:15], v[85:86]
	v_fma_f64 v[52:53], v[44:45], s[14:15], v[83:84]
	v_fma_f64 v[8:9], v[44:45], s[14:15], v[8:9]
	v_fma_f64 v[10:11], v[73:74], s[14:15], v[10:11]
	ds_write2_b64 v2, v[22:23], v[71:72] offset1:13
	ds_write2_b64 v2, v[8:9], v[52:53] offset0:26 offset1:39
	ds_write_b64 v2, v[10:11] offset:416
.LBB0_18:
	s_or_b32 exec_lo, exec_lo, s1
	v_add_f64 v[2:3], v[28:29], v[6:7]
	v_add_f64 v[8:9], v[30:31], v[18:19]
	;; [unrolled: 1-line block ×5, first 2 shown]
	v_add_f64 v[34:35], v[34:35], -v[48:49]
	v_add_f64 v[36:37], v[36:37], -v[42:43]
	v_add_f64 v[42:43], v[4:5], v[16:17]
	v_add_f64 v[38:39], v[38:39], -v[50:51]
	v_add_f64 v[48:49], v[16:17], -v[14:15]
	;; [unrolled: 1-line block ×5, first 2 shown]
	v_lshlrev_b32_e32 v66, 3, v82
	s_waitcnt lgkmcnt(0)
	s_barrier
	buffer_gl0_inv
	v_add3_u32 v66, 0, v66, v67
	v_fma_f64 v[2:3], v[2:3], -0.5, v[24:25]
	v_fma_f64 v[8:9], v[8:9], -0.5, v[24:25]
	v_add_f64 v[24:25], v[32:33], -v[40:41]
	v_fma_f64 v[10:11], v[10:11], -0.5, v[4:5]
	v_fma_f64 v[4:5], v[22:23], -0.5, v[4:5]
	v_add_f64 v[22:23], v[30:31], -v[28:29]
	v_add_f64 v[32:33], v[18:19], -v[6:7]
	;; [unrolled: 1-line block ×3, first 2 shown]
	v_add_f64 v[28:29], v[44:45], v[28:29]
	v_add_f64 v[14:15], v[42:43], v[14:15]
	v_add_f64 v[40:41], v[6:7], -v[18:19]
	v_fma_f64 v[42:43], v[34:35], s[16:17], v[2:3]
	v_fma_f64 v[2:3], v[34:35], s[8:9], v[2:3]
	;; [unrolled: 1-line block ×8, first 2 shown]
	v_add_f64 v[32:33], v[22:23], v[32:33]
	v_add_f64 v[28:29], v[28:29], v[6:7]
	;; [unrolled: 1-line block ×6, first 2 shown]
	v_fma_f64 v[42:43], v[36:37], s[6:7], v[42:43]
	v_fma_f64 v[2:3], v[36:37], s[4:5], v[2:3]
	;; [unrolled: 1-line block ×8, first 2 shown]
	v_add_nc_u32_e32 v73, 0x800, v66
	v_add_nc_u32_e32 v74, 0x1000, v66
	ds_read2_b64 v[6:9], v66 offset0:130 offset1:195
	ds_read_b64 v[22:23], v89
	ds_read_b64 v[52:53], v90 offset:520
	ds_read_b64 v[50:51], v66 offset:6240
	ds_read2_b64 v[14:17], v73 offset0:4 offset1:69
	v_add_f64 v[24:25], v[28:29], v[18:19]
	v_add_f64 v[28:29], v[12:13], v[20:21]
	v_fma_f64 v[38:39], v[32:33], s[14:15], v[42:43]
	v_fma_f64 v[32:33], v[32:33], s[14:15], v[2:3]
	;; [unrolled: 1-line block ×8, first 2 shown]
	ds_read2_b64 v[18:21], v73 offset0:134 offset1:199
	ds_read2_b64 v[10:13], v74 offset0:8 offset1:73
	;; [unrolled: 1-line block ×3, first 2 shown]
	s_waitcnt lgkmcnt(0)
	s_barrier
	buffer_gl0_inv
	ds_write2_b64 v69, v[24:25], v[38:39] offset1:13
	ds_write2_b64 v69, v[36:37], v[30:31] offset0:26 offset1:39
	ds_write_b64 v69, v[32:33] offset:416
	ds_write2_b64 v70, v[28:29], v[34:35] offset1:13
	ds_write2_b64 v70, v[42:43], v[44:45] offset0:26 offset1:39
	ds_write_b64 v70, v[40:41] offset:416
	s_and_saveexec_b32 s1, s0
	s_cbranch_execz .LBB0_20
; %bb.19:
	v_add_f64 v[24:25], v[56:57], v[46:47]
	v_add_f64 v[28:29], v[58:59], v[26:27]
	;; [unrolled: 1-line block ×3, first 2 shown]
	v_add_f64 v[32:33], v[60:61], -v[64:65]
	v_add_f64 v[34:35], v[62:63], -v[54:55]
	s_mov_b32 s4, 0x134454ff
	s_mov_b32 s5, 0x3fee6f0e
	s_mov_b32 s7, 0xbfee6f0e
	s_mov_b32 s6, s4
	v_add_f64 v[36:37], v[26:27], -v[46:47]
	v_add_f64 v[38:39], v[56:57], -v[58:59]
	;; [unrolled: 1-line block ×3, first 2 shown]
	v_fma_f64 v[24:25], v[24:25], -0.5, v[0:1]
	v_fma_f64 v[0:1], v[28:29], -0.5, v[0:1]
	v_add_f64 v[28:29], v[58:59], -v[56:57]
	v_add_f64 v[30:31], v[30:31], v[56:57]
	v_fma_f64 v[42:43], v[32:33], s[4:5], v[24:25]
	v_fma_f64 v[44:45], v[34:35], s[6:7], v[0:1]
	;; [unrolled: 1-line block ×4, first 2 shown]
	s_mov_b32 s4, 0x4755a5e
	s_mov_b32 s5, 0x3fe2cf23
	;; [unrolled: 1-line block ×4, first 2 shown]
	v_add_f64 v[28:29], v[28:29], v[36:37]
	v_add_f64 v[36:37], v[38:39], v[40:41]
	;; [unrolled: 1-line block ×3, first 2 shown]
	v_fma_f64 v[38:39], v[34:35], s[4:5], v[42:43]
	v_fma_f64 v[40:41], v[32:33], s[4:5], v[44:45]
	;; [unrolled: 1-line block ×4, first 2 shown]
	s_mov_b32 s4, 0x372fe950
	s_mov_b32 s5, 0x3fd3c6ef
	v_add_f64 v[26:27], v[30:31], v[26:27]
	v_fma_f64 v[30:31], v[28:29], s[4:5], v[38:39]
	v_fma_f64 v[32:33], v[36:37], s[4:5], v[40:41]
	;; [unrolled: 1-line block ×4, first 2 shown]
	v_mov_b32_e32 v28, 3
	v_mad_u32_u24 v29, 0x208, v68, 0
	v_lshlrev_b32_sdwa v28, v28, v92 dst_sel:DWORD dst_unused:UNUSED_PAD src0_sel:DWORD src1_sel:BYTE_0
	v_add3_u32 v28, v29, v28, v67
	ds_write2_b64 v28, v[26:27], v[30:31] offset1:13
	ds_write2_b64 v28, v[32:33], v[0:1] offset0:26 offset1:39
	ds_write_b64 v28, v[24:25] offset:416
.LBB0_20:
	s_or_b32 exec_lo, exec_lo, s1
	s_waitcnt lgkmcnt(0)
	s_barrier
	buffer_gl0_inv
	s_and_saveexec_b32 s0, vcc_lo
	s_cbranch_execz .LBB0_22
; %bb.21:
	v_mul_u32_u24_e32 v0, 12, v82
	v_add_nc_u32_e32 v44, 0x800, v66
	v_add_nc_u32_e32 v63, 0x1000, v66
	s_mov_b32 s22, 0x66966769
	s_mov_b32 s23, 0x3fefc445
	v_lshlrev_b32_e32 v62, 4, v0
	s_mov_b32 s9, 0xbfefc445
	s_mov_b32 s8, s22
	;; [unrolled: 1-line block ×4, first 2 shown]
	s_clause 0x1
	global_load_dwordx4 v[24:27], v62, s[12:13] offset:912
	global_load_dwordx4 v[28:31], v62, s[12:13] offset:928
	ds_read2_b64 v[36:39], v44 offset0:134 offset1:199
	global_load_dwordx4 v[32:35], v62, s[12:13] offset:896
	ds_read2_b64 v[44:47], v44 offset0:4 offset1:69
	s_mov_b32 s5, 0x3fbedb7d
	s_mov_b32 s7, 0xbfcea1e5
	;; [unrolled: 1-line block ×20, first 2 shown]
	s_waitcnt vmcnt(2)
	v_mul_f64 v[0:1], v[18:19], v[24:25]
	v_mul_f64 v[40:41], v[18:19], v[26:27]
	s_waitcnt lgkmcnt(1)
	v_fma_f64 v[18:19], v[36:37], v[26:27], v[0:1]
	s_waitcnt vmcnt(1)
	v_mul_f64 v[0:1], v[20:21], v[28:29]
	v_mul_f64 v[26:27], v[20:21], v[30:31]
	v_fma_f64 v[24:25], v[36:37], v[24:25], -v[40:41]
	global_load_dwordx4 v[40:43], v62, s[12:13] offset:944
	v_fma_f64 v[20:21], v[38:39], v[30:31], v[0:1]
	v_fma_f64 v[26:27], v[38:39], v[28:29], -v[26:27]
	global_load_dwordx4 v[36:39], v62, s[12:13] offset:880
	s_waitcnt vmcnt(2)
	v_mul_f64 v[0:1], v[16:17], v[32:33]
	v_mul_f64 v[28:29], v[16:17], v[34:35]
	v_add_f64 v[112:113], v[18:19], -v[20:21]
	v_add_f64 v[114:115], v[24:25], -v[26:27]
	s_waitcnt lgkmcnt(0)
	v_fma_f64 v[16:17], v[46:47], v[34:35], v[0:1]
	v_fma_f64 v[28:29], v[46:47], v[32:33], -v[28:29]
	global_load_dwordx4 v[46:49], v62, s[12:13] offset:864
	v_mul_f64 v[134:135], v[112:113], s[26:27]
	v_mul_f64 v[136:137], v[114:115], s[26:27]
	v_mul_f64 v[160:161], v[114:115], s[24:25]
	v_mul_f64 v[202:203], v[112:113], s[30:31]
	v_mul_f64 v[204:205], v[114:115], s[30:31]
	v_mul_f64 v[222:223], v[112:113], s[20:21]
	v_mul_f64 v[224:225], v[114:115], s[20:21]
	v_mul_f64 v[244:245], v[112:113], s[22:23]
	v_mul_f64 v[246:247], v[114:115], s[22:23]
	v_mul_f64 v[114:115], v[114:115], s[6:7]
	s_waitcnt vmcnt(1)
	v_mul_f64 v[0:1], v[14:15], v[36:37]
	v_mul_f64 v[14:15], v[14:15], v[38:39]
	v_fma_f64 v[30:31], v[44:45], v[38:39], v[0:1]
	v_mul_f64 v[0:1], v[10:11], v[40:41]
	v_fma_f64 v[32:33], v[44:45], v[36:37], -v[14:15]
	ds_read2_b64 v[34:37], v63 offset0:8 offset1:73
	s_waitcnt lgkmcnt(0)
	v_fma_f64 v[14:15], v[34:35], v[42:43], v[0:1]
	v_mul_f64 v[0:1], v[10:11], v[42:43]
	v_add_f64 v[108:109], v[16:17], -v[14:15]
	v_fma_f64 v[10:11], v[34:35], v[40:41], -v[0:1]
	s_clause 0x1
	global_load_dwordx4 v[38:41], v62, s[12:13] offset:960
	global_load_dwordx4 v[54:57], v62, s[12:13] offset:976
	v_add_f64 v[86:87], v[16:17], v[14:15]
	v_mul_f64 v[130:131], v[108:109], s[28:29]
	v_add_f64 v[84:85], v[28:29], v[10:11]
	v_add_f64 v[110:111], v[28:29], -v[10:11]
	v_mul_f64 v[218:219], v[108:109], s[24:25]
	v_mul_f64 v[132:133], v[110:111], s[28:29]
	;; [unrolled: 1-line block ×3, first 2 shown]
	s_waitcnt vmcnt(1)
	v_mul_f64 v[0:1], v[12:13], v[38:39]
	v_mul_f64 v[34:35], v[12:13], v[40:41]
	v_fma_f64 v[12:13], v[36:37], v[40:41], v[0:1]
	v_mul_f64 v[0:1], v[8:9], v[46:47]
	v_fma_f64 v[34:35], v[36:37], v[38:39], -v[34:35]
	ds_read2_b64 v[38:41], v66 offset0:130 offset1:195
	v_add_f64 v[104:105], v[30:31], -v[12:13]
	s_waitcnt lgkmcnt(0)
	v_fma_f64 v[36:37], v[40:41], v[48:49], v[0:1]
	v_mul_f64 v[0:1], v[8:9], v[48:49]
	v_add_f64 v[74:75], v[32:33], v[34:35]
	v_add_f64 v[106:107], v[32:33], -v[34:35]
	v_add_f64 v[82:83], v[30:31], v[12:13]
	v_mul_f64 v[126:127], v[104:105], s[24:25]
	v_mul_f64 v[194:195], v[104:105], s[8:9]
	v_fma_f64 v[8:9], v[40:41], v[46:47], -v[0:1]
	s_clause 0x1
	global_load_dwordx4 v[40:43], v62, s[12:13] offset:848
	global_load_dwordx4 v[58:61], v62, s[12:13] offset:832
	ds_read2_b64 v[46:49], v63 offset0:138 offset1:203
	v_mul_f64 v[128:129], v[106:107], s[24:25]
	v_mul_f64 v[196:197], v[106:107], s[8:9]
	s_waitcnt vmcnt(1)
	v_mul_f64 v[0:1], v[6:7], v[40:41]
	v_mul_f64 v[6:7], v[6:7], v[42:43]
	v_fma_f64 v[42:43], v[38:39], v[42:43], v[0:1]
	v_mul_f64 v[0:1], v[2:3], v[54:55]
	v_fma_f64 v[44:45], v[38:39], v[40:41], -v[6:7]
	s_waitcnt lgkmcnt(0)
	v_fma_f64 v[38:39], v[46:47], v[56:57], v[0:1]
	v_mul_f64 v[0:1], v[2:3], v[56:57]
	v_add_f64 v[98:99], v[36:37], -v[38:39]
	v_fma_f64 v[40:41], v[46:47], v[54:55], -v[0:1]
	s_clause 0x1
	global_load_dwordx4 v[0:3], v62, s[12:13] offset:992
	global_load_dwordx4 v[62:65], v62, s[12:13] offset:1008
	s_mov_b32 s12, 0xb2365da1
	s_mov_b32 s13, 0xbfd6b1d8
	v_add_f64 v[72:73], v[36:37], v[38:39]
	v_mul_f64 v[122:123], v[98:99], s[14:15]
	v_add_f64 v[70:71], v[8:9], v[40:41]
	v_add_f64 v[102:103], v[8:9], -v[40:41]
	v_mul_f64 v[190:191], v[98:99], s[24:25]
	v_mul_f64 v[210:211], v[98:99], s[28:29]
	;; [unrolled: 1-line block ×3, first 2 shown]
	s_mov_b32 s14, 0xe00740e9
	s_mov_b32 s15, 0x3fec55a7
	v_mul_f64 v[192:193], v[102:103], s[24:25]
	v_mul_f64 v[212:213], v[102:103], s[28:29]
	s_waitcnt vmcnt(1)
	v_mul_f64 v[6:7], v[4:5], v[0:1]
	v_mul_f64 v[4:5], v[4:5], v[2:3]
	v_fma_f64 v[46:47], v[48:49], v[2:3], v[6:7]
	v_fma_f64 v[48:49], v[48:49], v[0:1], -v[4:5]
	v_mul_f64 v[0:1], v[52:53], v[58:59]
	ds_read_b64 v[4:5], v90 offset:520
	ds_read_b64 v[6:7], v66 offset:6240
	ds_read_b64 v[54:55], v89
	v_mul_f64 v[2:3], v[52:53], v[60:61]
	v_add_f64 v[88:89], v[24:25], v[26:27]
	v_add_f64 v[90:91], v[18:19], v[20:21]
	v_add_f64 v[92:93], v[42:43], -v[46:47]
	v_add_f64 v[66:67], v[44:45], v[48:49]
	s_waitcnt lgkmcnt(2)
	v_fma_f64 v[56:57], v[4:5], v[60:61], v[0:1]
	s_waitcnt vmcnt(0)
	v_mul_f64 v[0:1], v[50:51], v[62:63]
	v_fma_f64 v[58:59], v[4:5], v[58:59], -v[2:3]
	v_mul_f64 v[2:3], v[50:51], v[64:65]
	v_add_f64 v[96:97], v[44:45], -v[48:49]
	v_add_f64 v[68:69], v[42:43], v[46:47]
	v_mul_f64 v[116:117], v[92:93], s[6:7]
	v_mul_f64 v[140:141], v[92:93], s[20:21]
	;; [unrolled: 1-line block ×3, first 2 shown]
	s_waitcnt lgkmcnt(1)
	v_fma_f64 v[50:51], v[6:7], v[64:65], v[0:1]
	v_mul_f64 v[180:181], v[92:93], s[22:23]
	v_fma_f64 v[52:53], v[6:7], v[62:63], -v[2:3]
	v_mul_f64 v[120:121], v[96:97], s[6:7]
	v_mul_f64 v[146:147], v[96:97], s[20:21]
	;; [unrolled: 1-line block ×7, first 2 shown]
	v_fma_f64 v[2:3], v[66:67], s[0:1], -v[116:117]
	v_fma_f64 v[6:7], v[66:67], s[12:13], -v[140:141]
	;; [unrolled: 1-line block ×3, first 2 shown]
	v_add_f64 v[62:63], v[56:57], -v[50:51]
	v_add_f64 v[64:65], v[56:57], v[50:51]
	v_add_f64 v[60:61], v[58:59], v[52:53]
	v_add_f64 v[94:95], v[58:59], -v[52:53]
	v_fma_f64 v[4:5], v[68:69], s[0:1], v[120:121]
	v_fma_f64 v[144:145], v[68:69], s[12:13], v[146:147]
	;; [unrolled: 1-line block ×4, first 2 shown]
	v_fma_f64 v[168:169], v[66:67], s[4:5], -v[180:181]
	v_fma_f64 v[170:171], v[68:69], s[4:5], v[208:209]
	v_fma_f64 v[172:173], v[66:67], s[14:15], -v[176:177]
	v_fma_f64 v[230:231], v[68:69], s[14:15], v[228:229]
	v_fma_f64 v[176:177], v[66:67], s[14:15], v[176:177]
	;; [unrolled: 1-line block ×4, first 2 shown]
	v_mul_f64 v[100:101], v[62:63], s[8:9]
	v_mul_f64 v[138:139], v[62:63], s[28:29]
	;; [unrolled: 1-line block ×10, first 2 shown]
	v_fma_f64 v[0:1], v[60:61], s[4:5], -v[100:101]
	v_fma_f64 v[100:101], v[60:61], s[4:5], v[100:101]
	s_waitcnt lgkmcnt(0)
	v_add_f64 v[0:1], v[54:55], v[0:1]
	v_add_f64 v[100:101], v[54:55], v[100:101]
	;; [unrolled: 1-line block ×3, first 2 shown]
	v_fma_f64 v[2:3], v[64:65], s[4:5], v[118:119]
	v_add_f64 v[100:101], v[116:117], v[100:101]
	v_fma_f64 v[116:117], v[64:65], s[4:5], -v[118:119]
	v_fma_f64 v[118:119], v[68:69], s[0:1], -v[120:121]
	;; [unrolled: 1-line block ×3, first 2 shown]
	v_add_f64 v[2:3], v[22:23], v[2:3]
	v_add_f64 v[116:117], v[22:23], v[116:117]
	;; [unrolled: 1-line block ×3, first 2 shown]
	v_fma_f64 v[4:5], v[70:71], s[12:13], -v[122:123]
	v_add_f64 v[116:117], v[118:119], v[116:117]
	v_fma_f64 v[118:119], v[70:71], s[12:13], v[122:123]
	v_fma_f64 v[122:123], v[68:69], s[12:13], -v[146:147]
	v_add_f64 v[0:1], v[4:5], v[0:1]
	v_fma_f64 v[4:5], v[72:73], s[12:13], v[124:125]
	v_add_f64 v[100:101], v[118:119], v[100:101]
	v_fma_f64 v[118:119], v[72:73], s[12:13], -v[124:125]
	v_fma_f64 v[124:125], v[90:91], s[14:15], -v[160:161]
	v_add_f64 v[2:3], v[4:5], v[2:3]
	v_fma_f64 v[4:5], v[74:75], s[14:15], -v[126:127]
	v_add_f64 v[116:117], v[118:119], v[116:117]
	v_fma_f64 v[118:119], v[74:75], s[14:15], v[126:127]
	v_fma_f64 v[126:127], v[68:69], s[18:19], v[96:97]
	v_add_f64 v[0:1], v[4:5], v[0:1]
	v_fma_f64 v[4:5], v[82:83], s[14:15], v[128:129]
	v_add_f64 v[100:101], v[118:119], v[100:101]
	v_fma_f64 v[118:119], v[82:83], s[14:15], -v[128:129]
	v_add_f64 v[2:3], v[4:5], v[2:3]
	v_fma_f64 v[4:5], v[84:85], s[18:19], -v[130:131]
	v_add_f64 v[116:117], v[118:119], v[116:117]
	v_fma_f64 v[118:119], v[84:85], s[18:19], v[130:131]
	v_add_f64 v[0:1], v[4:5], v[0:1]
	v_fma_f64 v[4:5], v[86:87], s[18:19], v[132:133]
	v_add_f64 v[100:101], v[118:119], v[100:101]
	v_fma_f64 v[118:119], v[86:87], s[18:19], -v[132:133]
	v_add_f64 v[4:5], v[4:5], v[2:3]
	v_fma_f64 v[2:3], v[88:89], s[16:17], -v[134:135]
	v_add_f64 v[116:117], v[118:119], v[116:117]
	v_fma_f64 v[118:119], v[88:89], s[16:17], v[134:135]
	v_add_f64 v[2:3], v[2:3], v[0:1]
	v_fma_f64 v[0:1], v[90:91], s[16:17], v[136:137]
	v_add_f64 v[118:119], v[118:119], v[100:101]
	v_fma_f64 v[100:101], v[60:61], s[18:19], v[138:139]
	v_add_f64 v[116:117], v[120:121], v[116:117]
	v_fma_f64 v[120:121], v[66:67], s[12:13], v[140:141]
	v_add_f64 v[0:1], v[0:1], v[4:5]
	v_fma_f64 v[4:5], v[60:61], s[18:19], -v[138:139]
	v_add_f64 v[100:101], v[54:55], v[100:101]
	v_add_f64 v[4:5], v[54:55], v[4:5]
	;; [unrolled: 1-line block ×3, first 2 shown]
	v_fma_f64 v[120:121], v[64:65], s[18:19], -v[142:143]
	v_add_f64 v[4:5], v[6:7], v[4:5]
	v_fma_f64 v[6:7], v[64:65], s[18:19], v[142:143]
	v_add_f64 v[120:121], v[22:23], v[120:121]
	v_add_f64 v[6:7], v[22:23], v[6:7]
	;; [unrolled: 1-line block ×4, first 2 shown]
	v_mul_f64 v[144:145], v[98:99], s[6:7]
	v_fma_f64 v[148:149], v[70:71], s[0:1], -v[144:145]
	v_fma_f64 v[122:123], v[70:71], s[0:1], v[144:145]
	v_add_f64 v[4:5], v[148:149], v[4:5]
	v_mul_f64 v[148:149], v[102:103], s[6:7]
	v_add_f64 v[100:101], v[122:123], v[100:101]
	v_fma_f64 v[150:151], v[72:73], s[0:1], v[148:149]
	v_fma_f64 v[122:123], v[72:73], s[0:1], -v[148:149]
	v_add_f64 v[6:7], v[150:151], v[6:7]
	v_mul_f64 v[150:151], v[104:105], s[34:35]
	v_add_f64 v[120:121], v[122:123], v[120:121]
	v_fma_f64 v[152:153], v[74:75], s[16:17], -v[150:151]
	v_fma_f64 v[122:123], v[74:75], s[16:17], v[150:151]
	v_add_f64 v[4:5], v[152:153], v[4:5]
	v_mul_f64 v[152:153], v[106:107], s[34:35]
	s_mov_b32 s35, 0x3fcea1e5
	s_mov_b32 s34, s6
	v_add_f64 v[100:101], v[122:123], v[100:101]
	v_mul_f64 v[198:199], v[108:109], s[34:35]
	v_mul_f64 v[200:201], v[110:111], s[34:35]
	;; [unrolled: 1-line block ×4, first 2 shown]
	v_fma_f64 v[154:155], v[82:83], s[16:17], v[152:153]
	v_fma_f64 v[122:123], v[82:83], s[16:17], -v[152:153]
	v_add_f64 v[6:7], v[154:155], v[6:7]
	v_mul_f64 v[154:155], v[108:109], s[22:23]
	v_add_f64 v[120:121], v[122:123], v[120:121]
	v_fma_f64 v[156:157], v[84:85], s[4:5], -v[154:155]
	v_fma_f64 v[122:123], v[84:85], s[4:5], v[154:155]
	v_add_f64 v[4:5], v[156:157], v[4:5]
	v_mul_f64 v[156:157], v[110:111], s[22:23]
	v_add_f64 v[100:101], v[122:123], v[100:101]
	v_fma_f64 v[158:159], v[86:87], s[4:5], v[156:157]
	v_fma_f64 v[122:123], v[86:87], s[4:5], -v[156:157]
	v_add_f64 v[162:163], v[158:159], v[6:7]
	v_mul_f64 v[158:159], v[112:113], s[24:25]
	s_mov_b32 s25, 0xbfddbe06
	v_add_f64 v[120:121], v[122:123], v[120:121]
	v_mul_f64 v[62:63], v[62:63], s[24:25]
	v_mul_f64 v[112:113], v[112:113], s[6:7]
	v_fma_f64 v[6:7], v[88:89], s[14:15], -v[158:159]
	v_fma_f64 v[122:123], v[88:89], s[14:15], v[158:159]
	v_add_f64 v[120:121], v[124:125], v[120:121]
	v_add_f64 v[6:7], v[6:7], v[4:5]
	v_fma_f64 v[4:5], v[90:91], s[14:15], v[160:161]
	v_add_f64 v[122:123], v[122:123], v[100:101]
	v_mul_f64 v[100:101], v[92:93], s[28:29]
	v_fma_f64 v[92:93], v[60:61], s[14:15], -v[62:63]
	v_add_f64 v[4:5], v[4:5], v[162:163]
	v_fma_f64 v[162:163], v[60:61], s[12:13], -v[182:183]
	v_fma_f64 v[182:183], v[60:61], s[12:13], v[182:183]
	v_add_f64 v[92:93], v[54:55], v[92:93]
	v_fma_f64 v[124:125], v[66:67], s[18:19], -v[100:101]
	v_add_f64 v[162:163], v[54:55], v[162:163]
	v_add_f64 v[182:183], v[54:55], v[182:183]
	;; [unrolled: 1-line block ×3, first 2 shown]
	v_mul_f64 v[124:125], v[94:95], s[24:25]
	v_add_f64 v[162:163], v[164:165], v[162:163]
	v_fma_f64 v[164:165], v[64:65], s[12:13], v[186:187]
	v_add_f64 v[182:183], v[184:185], v[182:183]
	v_fma_f64 v[184:185], v[64:65], s[12:13], -v[186:187]
	v_fma_f64 v[94:95], v[64:65], s[14:15], v[124:125]
	v_fma_f64 v[186:187], v[68:69], s[16:17], -v[188:189]
	v_fma_f64 v[188:189], v[90:91], s[18:19], -v[204:205]
	v_add_f64 v[164:165], v[22:23], v[164:165]
	v_add_f64 v[184:185], v[22:23], v[184:185]
	;; [unrolled: 1-line block ×4, first 2 shown]
	v_fma_f64 v[166:167], v[70:71], s[14:15], -v[190:191]
	v_add_f64 v[184:185], v[186:187], v[184:185]
	v_add_f64 v[94:95], v[126:127], v[94:95]
	v_fma_f64 v[186:187], v[70:71], s[14:15], v[190:191]
	v_add_f64 v[162:163], v[166:167], v[162:163]
	v_fma_f64 v[166:167], v[72:73], s[14:15], v[192:193]
	v_add_f64 v[182:183], v[186:187], v[182:183]
	v_fma_f64 v[186:187], v[72:73], s[14:15], -v[192:193]
	v_add_f64 v[164:165], v[166:167], v[164:165]
	v_fma_f64 v[166:167], v[74:75], s[4:5], -v[194:195]
	v_add_f64 v[184:185], v[186:187], v[184:185]
	v_fma_f64 v[186:187], v[74:75], s[4:5], v[194:195]
	v_add_f64 v[162:163], v[166:167], v[162:163]
	v_fma_f64 v[166:167], v[82:83], s[4:5], v[196:197]
	v_add_f64 v[182:183], v[186:187], v[182:183]
	v_fma_f64 v[186:187], v[82:83], s[4:5], -v[196:197]
	v_add_f64 v[164:165], v[166:167], v[164:165]
	v_fma_f64 v[166:167], v[84:85], s[0:1], -v[198:199]
	;; [unrolled: 8-line block ×3, first 2 shown]
	v_add_f64 v[186:187], v[186:187], v[184:185]
	v_fma_f64 v[184:185], v[88:89], s[18:19], v[202:203]
	v_add_f64 v[164:165], v[164:165], v[162:163]
	v_fma_f64 v[162:163], v[90:91], s[18:19], v[204:205]
	v_add_f64 v[184:185], v[184:185], v[182:183]
	v_add_f64 v[182:183], v[188:189], v[186:187]
	;; [unrolled: 1-line block ×3, first 2 shown]
	v_fma_f64 v[166:167], v[60:61], s[16:17], -v[178:179]
	v_fma_f64 v[178:179], v[60:61], s[16:17], v[178:179]
	v_add_f64 v[166:167], v[54:55], v[166:167]
	v_add_f64 v[178:179], v[54:55], v[178:179]
	;; [unrolled: 1-line block ×3, first 2 shown]
	v_fma_f64 v[168:169], v[64:65], s[16:17], v[206:207]
	v_add_f64 v[178:179], v[180:181], v[178:179]
	v_fma_f64 v[180:181], v[64:65], s[16:17], -v[206:207]
	v_fma_f64 v[206:207], v[68:69], s[4:5], -v[208:209]
	;; [unrolled: 1-line block ×3, first 2 shown]
	v_add_f64 v[168:169], v[22:23], v[168:169]
	v_add_f64 v[180:181], v[22:23], v[180:181]
	;; [unrolled: 1-line block ×3, first 2 shown]
	v_fma_f64 v[170:171], v[70:71], s[18:19], -v[210:211]
	v_add_f64 v[180:181], v[206:207], v[180:181]
	v_fma_f64 v[206:207], v[70:71], s[18:19], v[210:211]
	v_add_f64 v[166:167], v[170:171], v[166:167]
	v_fma_f64 v[170:171], v[72:73], s[18:19], v[212:213]
	v_add_f64 v[178:179], v[206:207], v[178:179]
	v_fma_f64 v[206:207], v[72:73], s[18:19], -v[212:213]
	v_add_f64 v[168:169], v[170:171], v[168:169]
	v_fma_f64 v[170:171], v[74:75], s[0:1], -v[214:215]
	v_add_f64 v[180:181], v[206:207], v[180:181]
	v_fma_f64 v[206:207], v[74:75], s[0:1], v[214:215]
	v_add_f64 v[166:167], v[170:171], v[166:167]
	v_fma_f64 v[170:171], v[82:83], s[0:1], v[216:217]
	v_add_f64 v[178:179], v[206:207], v[178:179]
	v_fma_f64 v[206:207], v[82:83], s[0:1], -v[216:217]
	v_add_f64 v[168:169], v[170:171], v[168:169]
	;; [unrolled: 8-line block ×3, first 2 shown]
	v_fma_f64 v[168:169], v[88:89], s[12:13], -v[222:223]
	v_add_f64 v[206:207], v[206:207], v[180:181]
	v_fma_f64 v[180:181], v[88:89], s[12:13], v[222:223]
	v_add_f64 v[168:169], v[168:169], v[166:167]
	v_fma_f64 v[166:167], v[90:91], s[12:13], v[224:225]
	v_add_f64 v[180:181], v[180:181], v[178:179]
	v_add_f64 v[178:179], v[208:209], v[206:207]
	;; [unrolled: 1-line block ×3, first 2 shown]
	v_fma_f64 v[170:171], v[60:61], s[0:1], -v[174:175]
	v_fma_f64 v[174:175], v[60:61], s[0:1], v[174:175]
	v_fma_f64 v[60:61], v[60:61], s[14:15], v[62:63]
	;; [unrolled: 1-line block ×3, first 2 shown]
	v_fma_f64 v[66:67], v[68:69], s[18:19], -v[96:97]
	v_add_f64 v[170:171], v[54:55], v[170:171]
	v_add_f64 v[174:175], v[54:55], v[174:175]
	;; [unrolled: 1-line block ×5, first 2 shown]
	v_fma_f64 v[172:173], v[64:65], s[0:1], v[226:227]
	v_add_f64 v[174:175], v[176:177], v[174:175]
	v_fma_f64 v[176:177], v[64:65], s[0:1], -v[226:227]
	v_fma_f64 v[64:65], v[64:65], s[14:15], -v[124:125]
	v_add_f64 v[60:61], v[62:63], v[60:61]
	v_add_f64 v[44:45], v[44:45], v[54:55]
	v_fma_f64 v[226:227], v[68:69], s[14:15], -v[228:229]
	v_fma_f64 v[228:229], v[90:91], s[4:5], -v[246:247]
	v_add_f64 v[172:173], v[22:23], v[172:173]
	v_add_f64 v[176:177], v[22:23], v[176:177]
	;; [unrolled: 1-line block ×6, first 2 shown]
	v_mul_f64 v[230:231], v[98:99], s[26:27]
	v_mul_f64 v[98:99], v[98:99], s[8:9]
	v_add_f64 v[176:177], v[226:227], v[176:177]
	v_add_f64 v[22:23], v[42:43], v[22:23]
	;; [unrolled: 1-line block ×4, first 2 shown]
	v_fma_f64 v[232:233], v[70:71], s[16:17], -v[230:231]
	v_fma_f64 v[126:127], v[70:71], s[4:5], -v[98:99]
	v_fma_f64 v[226:227], v[70:71], s[16:17], v[230:231]
	v_add_f64 v[22:23], v[36:37], v[22:23]
	v_add_f64 v[8:9], v[28:29], v[8:9]
	v_fma_f64 v[68:69], v[70:71], s[4:5], v[98:99]
	v_add_f64 v[170:171], v[232:233], v[170:171]
	v_mul_f64 v[232:233], v[102:103], s[26:27]
	v_mul_f64 v[102:103], v[102:103], s[8:9]
	v_add_f64 v[22:23], v[30:31], v[22:23]
	v_add_f64 v[92:93], v[126:127], v[92:93]
	;; [unrolled: 1-line block ×5, first 2 shown]
	v_fma_f64 v[234:235], v[72:73], s[16:17], v[232:233]
	v_fma_f64 v[126:127], v[72:73], s[4:5], v[102:103]
	v_add_f64 v[16:17], v[16:17], v[22:23]
	v_fma_f64 v[226:227], v[72:73], s[16:17], -v[232:233]
	v_fma_f64 v[70:71], v[72:73], s[4:5], -v[102:103]
	v_add_f64 v[8:9], v[26:27], v[8:9]
	v_add_f64 v[172:173], v[234:235], v[172:173]
	v_mul_f64 v[234:235], v[104:105], s[30:31]
	v_mul_f64 v[104:105], v[104:105], s[20:21]
	v_add_f64 v[94:95], v[126:127], v[94:95]
	v_add_f64 v[16:17], v[18:19], v[16:17]
	;; [unrolled: 1-line block ×5, first 2 shown]
	v_fma_f64 v[236:237], v[74:75], s[18:19], -v[234:235]
	v_fma_f64 v[126:127], v[74:75], s[12:13], -v[104:105]
	v_fma_f64 v[226:227], v[74:75], s[18:19], v[234:235]
	v_fma_f64 v[64:65], v[74:75], s[12:13], v[104:105]
	v_add_f64 v[16:17], v[20:21], v[16:17]
	v_add_f64 v[8:9], v[34:35], v[8:9]
	;; [unrolled: 1-line block ×3, first 2 shown]
	v_mul_f64 v[236:237], v[106:107], s[30:31]
	v_mul_f64 v[106:107], v[106:107], s[20:21]
	v_add_f64 v[92:93], v[126:127], v[92:93]
	v_add_f64 v[174:175], v[226:227], v[174:175]
	;; [unrolled: 1-line block ×4, first 2 shown]
	v_fma_f64 v[64:65], v[88:89], s[0:1], v[112:113]
	v_add_f64 v[8:9], v[40:41], v[8:9]
	v_fma_f64 v[238:239], v[82:83], s[18:19], v[236:237]
	v_fma_f64 v[66:67], v[82:83], s[12:13], -v[106:107]
	v_fma_f64 v[126:127], v[82:83], s[12:13], v[106:107]
	v_fma_f64 v[226:227], v[82:83], s[18:19], -v[236:237]
	v_add_f64 v[10:11], v[12:13], v[10:11]
	v_add_f64 v[8:9], v[48:49], v[8:9]
	;; [unrolled: 1-line block ×3, first 2 shown]
	v_mul_f64 v[238:239], v[108:109], s[20:21]
	v_mul_f64 v[108:109], v[108:109], s[26:27]
	v_add_f64 v[62:63], v[66:67], v[62:63]
	v_add_f64 v[94:95], v[126:127], v[94:95]
	;; [unrolled: 1-line block ×3, first 2 shown]
	v_fma_f64 v[66:67], v[90:91], s[0:1], -v[114:115]
	v_add_f64 v[10:11], v[38:39], v[10:11]
	v_fma_f64 v[240:241], v[84:85], s[12:13], -v[238:239]
	v_fma_f64 v[68:69], v[84:85], s[16:17], v[108:109]
	v_fma_f64 v[126:127], v[84:85], s[16:17], -v[108:109]
	v_fma_f64 v[226:227], v[84:85], s[12:13], v[238:239]
	v_add_f64 v[10:11], v[46:47], v[10:11]
	v_add_f64 v[170:171], v[240:241], v[170:171]
	v_mul_f64 v[240:241], v[110:111], s[20:21]
	v_mul_f64 v[110:111], v[110:111], s[26:27]
	v_add_f64 v[60:61], v[68:69], v[60:61]
	v_add_f64 v[92:93], v[126:127], v[92:93]
	;; [unrolled: 1-line block ×3, first 2 shown]
	v_fma_f64 v[242:243], v[86:87], s[12:13], v[240:241]
	v_fma_f64 v[70:71], v[86:87], s[16:17], -v[110:111]
	v_fma_f64 v[126:127], v[86:87], s[16:17], v[110:111]
	v_fma_f64 v[226:227], v[86:87], s[12:13], -v[240:241]
	v_add_f64 v[242:243], v[242:243], v[172:173]
	v_add_f64 v[68:69], v[70:71], v[62:63]
	v_fma_f64 v[172:173], v[88:89], s[4:5], -v[244:245]
	v_add_f64 v[62:63], v[64:65], v[60:61]
	v_mad_u64_u32 v[64:65], null, s2, v78, 0
	v_add_f64 v[126:127], v[126:127], v[94:95]
	v_fma_f64 v[94:95], v[88:89], s[0:1], -v[112:113]
	v_add_f64 v[226:227], v[226:227], v[176:177]
	v_fma_f64 v[176:177], v[88:89], s[4:5], v[244:245]
	v_add_f64 v[60:61], v[66:67], v[68:69]
	v_mul_lo_u32 v66, s3, v78
	v_mul_lo_u32 v67, s2, v79
	v_add_f64 v[172:173], v[172:173], v[170:171]
	v_fma_f64 v[170:171], v[90:91], s[4:5], v[246:247]
	v_add_f64 v[94:95], v[94:95], v[92:93]
	v_fma_f64 v[92:93], v[90:91], s[0:1], v[114:115]
	v_add_f64 v[176:177], v[176:177], v[174:175]
	v_add_f64 v[174:175], v[228:229], v[226:227]
	v_add3_u32 v65, v65, v67, v66
	v_lshlrev_b64 v[64:65], 4, v[64:65]
	v_add_co_u32 v66, vcc_lo, s10, v64
	v_add_co_ci_u32_e32 v67, vcc_lo, s11, v65, vcc_lo
	v_lshlrev_b64 v[64:65], 4, v[76:77]
	v_add_f64 v[170:171], v[170:171], v[242:243]
	v_add_f64 v[92:93], v[92:93], v[126:127]
	v_add_co_u32 v66, vcc_lo, v66, v64
	v_add_co_ci_u32_e32 v67, vcc_lo, v67, v65, vcc_lo
	v_lshlrev_b64 v[64:65], 4, v[80:81]
	v_add_co_u32 v64, vcc_lo, v66, v64
	v_add_co_ci_u32_e32 v65, vcc_lo, v67, v65, vcc_lo
	v_add_co_u32 v12, vcc_lo, 0x800, v64
	v_add_co_ci_u32_e32 v13, vcc_lo, 0, v65, vcc_lo
	;; [unrolled: 2-line block ×3, first 2 shown]
	global_store_dwordx4 v[12:13], v[4:7], off offset:32
	v_add_f64 v[6:7], v[52:53], v[8:9]
	v_add_f64 v[4:5], v[50:51], v[10:11]
	v_add_co_u32 v16, vcc_lo, 0x1800, v64
	v_add_co_ci_u32_e32 v17, vcc_lo, 0, v65, vcc_lo
	v_add_co_u32 v8, vcc_lo, 0x2000, v64
	v_add_co_ci_u32_e32 v9, vcc_lo, 0, v65, vcc_lo
	;; [unrolled: 2-line block ×3, first 2 shown]
	global_store_dwordx4 v[12:13], v[0:3], off offset:1072
	v_add_co_u32 v0, vcc_lo, 0x3000, v64
	v_add_co_ci_u32_e32 v1, vcc_lo, 0, v65, vcc_lo
	global_store_dwordx4 v[14:15], v[162:165], off offset:64
	global_store_dwordx4 v[14:15], v[166:169], off offset:1104
	;; [unrolled: 1-line block ×9, first 2 shown]
	global_store_dwordx4 v[64:65], v[4:7], off
	global_store_dwordx4 v[0:1], v[60:63], off offset:192
.LBB0_22:
	s_endpgm
	.section	.rodata,"a",@progbits
	.p2align	6, 0x0
	.amdhsa_kernel fft_rtc_back_len845_factors_13_5_13_wgs_195_tpt_65_halfLds_dp_op_CI_CI_unitstride_sbrr_dirReg
		.amdhsa_group_segment_fixed_size 0
		.amdhsa_private_segment_fixed_size 0
		.amdhsa_kernarg_size 104
		.amdhsa_user_sgpr_count 6
		.amdhsa_user_sgpr_private_segment_buffer 1
		.amdhsa_user_sgpr_dispatch_ptr 0
		.amdhsa_user_sgpr_queue_ptr 0
		.amdhsa_user_sgpr_kernarg_segment_ptr 1
		.amdhsa_user_sgpr_dispatch_id 0
		.amdhsa_user_sgpr_flat_scratch_init 0
		.amdhsa_user_sgpr_private_segment_size 0
		.amdhsa_wavefront_size32 1
		.amdhsa_uses_dynamic_stack 0
		.amdhsa_system_sgpr_private_segment_wavefront_offset 0
		.amdhsa_system_sgpr_workgroup_id_x 1
		.amdhsa_system_sgpr_workgroup_id_y 0
		.amdhsa_system_sgpr_workgroup_id_z 0
		.amdhsa_system_sgpr_workgroup_info 0
		.amdhsa_system_vgpr_workitem_id 0
		.amdhsa_next_free_vgpr 248
		.amdhsa_next_free_sgpr 46
		.amdhsa_reserve_vcc 1
		.amdhsa_reserve_flat_scratch 0
		.amdhsa_float_round_mode_32 0
		.amdhsa_float_round_mode_16_64 0
		.amdhsa_float_denorm_mode_32 3
		.amdhsa_float_denorm_mode_16_64 3
		.amdhsa_dx10_clamp 1
		.amdhsa_ieee_mode 1
		.amdhsa_fp16_overflow 0
		.amdhsa_workgroup_processor_mode 1
		.amdhsa_memory_ordered 1
		.amdhsa_forward_progress 0
		.amdhsa_shared_vgpr_count 0
		.amdhsa_exception_fp_ieee_invalid_op 0
		.amdhsa_exception_fp_denorm_src 0
		.amdhsa_exception_fp_ieee_div_zero 0
		.amdhsa_exception_fp_ieee_overflow 0
		.amdhsa_exception_fp_ieee_underflow 0
		.amdhsa_exception_fp_ieee_inexact 0
		.amdhsa_exception_int_div_zero 0
	.end_amdhsa_kernel
	.text
.Lfunc_end0:
	.size	fft_rtc_back_len845_factors_13_5_13_wgs_195_tpt_65_halfLds_dp_op_CI_CI_unitstride_sbrr_dirReg, .Lfunc_end0-fft_rtc_back_len845_factors_13_5_13_wgs_195_tpt_65_halfLds_dp_op_CI_CI_unitstride_sbrr_dirReg
                                        ; -- End function
	.section	.AMDGPU.csdata,"",@progbits
; Kernel info:
; codeLenInByte = 12692
; NumSgprs: 48
; NumVgprs: 248
; ScratchSize: 0
; MemoryBound: 1
; FloatMode: 240
; IeeeMode: 1
; LDSByteSize: 0 bytes/workgroup (compile time only)
; SGPRBlocks: 5
; VGPRBlocks: 30
; NumSGPRsForWavesPerEU: 48
; NumVGPRsForWavesPerEU: 248
; Occupancy: 4
; WaveLimiterHint : 1
; COMPUTE_PGM_RSRC2:SCRATCH_EN: 0
; COMPUTE_PGM_RSRC2:USER_SGPR: 6
; COMPUTE_PGM_RSRC2:TRAP_HANDLER: 0
; COMPUTE_PGM_RSRC2:TGID_X_EN: 1
; COMPUTE_PGM_RSRC2:TGID_Y_EN: 0
; COMPUTE_PGM_RSRC2:TGID_Z_EN: 0
; COMPUTE_PGM_RSRC2:TIDIG_COMP_CNT: 0
	.text
	.p2alignl 6, 3214868480
	.fill 48, 4, 3214868480
	.type	__hip_cuid_9aa65a1c0a775992,@object ; @__hip_cuid_9aa65a1c0a775992
	.section	.bss,"aw",@nobits
	.globl	__hip_cuid_9aa65a1c0a775992
__hip_cuid_9aa65a1c0a775992:
	.byte	0                               ; 0x0
	.size	__hip_cuid_9aa65a1c0a775992, 1

	.ident	"AMD clang version 19.0.0git (https://github.com/RadeonOpenCompute/llvm-project roc-6.4.0 25133 c7fe45cf4b819c5991fe208aaa96edf142730f1d)"
	.section	".note.GNU-stack","",@progbits
	.addrsig
	.addrsig_sym __hip_cuid_9aa65a1c0a775992
	.amdgpu_metadata
---
amdhsa.kernels:
  - .args:
      - .actual_access:  read_only
        .address_space:  global
        .offset:         0
        .size:           8
        .value_kind:     global_buffer
      - .offset:         8
        .size:           8
        .value_kind:     by_value
      - .actual_access:  read_only
        .address_space:  global
        .offset:         16
        .size:           8
        .value_kind:     global_buffer
      - .actual_access:  read_only
        .address_space:  global
        .offset:         24
        .size:           8
        .value_kind:     global_buffer
      - .actual_access:  read_only
        .address_space:  global
        .offset:         32
        .size:           8
        .value_kind:     global_buffer
      - .offset:         40
        .size:           8
        .value_kind:     by_value
      - .actual_access:  read_only
        .address_space:  global
        .offset:         48
        .size:           8
        .value_kind:     global_buffer
      - .actual_access:  read_only
        .address_space:  global
        .offset:         56
        .size:           8
        .value_kind:     global_buffer
      - .offset:         64
        .size:           4
        .value_kind:     by_value
      - .actual_access:  read_only
        .address_space:  global
        .offset:         72
        .size:           8
        .value_kind:     global_buffer
      - .actual_access:  read_only
        .address_space:  global
        .offset:         80
        .size:           8
        .value_kind:     global_buffer
      - .actual_access:  read_only
        .address_space:  global
        .offset:         88
        .size:           8
        .value_kind:     global_buffer
      - .actual_access:  write_only
        .address_space:  global
        .offset:         96
        .size:           8
        .value_kind:     global_buffer
    .group_segment_fixed_size: 0
    .kernarg_segment_align: 8
    .kernarg_segment_size: 104
    .language:       OpenCL C
    .language_version:
      - 2
      - 0
    .max_flat_workgroup_size: 195
    .name:           fft_rtc_back_len845_factors_13_5_13_wgs_195_tpt_65_halfLds_dp_op_CI_CI_unitstride_sbrr_dirReg
    .private_segment_fixed_size: 0
    .sgpr_count:     48
    .sgpr_spill_count: 0
    .symbol:         fft_rtc_back_len845_factors_13_5_13_wgs_195_tpt_65_halfLds_dp_op_CI_CI_unitstride_sbrr_dirReg.kd
    .uniform_work_group_size: 1
    .uses_dynamic_stack: false
    .vgpr_count:     248
    .vgpr_spill_count: 0
    .wavefront_size: 32
    .workgroup_processor_mode: 1
amdhsa.target:   amdgcn-amd-amdhsa--gfx1030
amdhsa.version:
  - 1
  - 2
...

	.end_amdgpu_metadata
